;; amdgpu-corpus repo=ROCm/rocFFT kind=compiled arch=gfx906 opt=O3
	.text
	.amdgcn_target "amdgcn-amd-amdhsa--gfx906"
	.amdhsa_code_object_version 6
	.protected	fft_rtc_fwd_len1326_factors_17_6_13_wgs_204_tpt_102_halfLds_sp_ip_CI_unitstride_sbrr_R2C_dirReg ; -- Begin function fft_rtc_fwd_len1326_factors_17_6_13_wgs_204_tpt_102_halfLds_sp_ip_CI_unitstride_sbrr_R2C_dirReg
	.globl	fft_rtc_fwd_len1326_factors_17_6_13_wgs_204_tpt_102_halfLds_sp_ip_CI_unitstride_sbrr_R2C_dirReg
	.p2align	8
	.type	fft_rtc_fwd_len1326_factors_17_6_13_wgs_204_tpt_102_halfLds_sp_ip_CI_unitstride_sbrr_R2C_dirReg,@function
fft_rtc_fwd_len1326_factors_17_6_13_wgs_204_tpt_102_halfLds_sp_ip_CI_unitstride_sbrr_R2C_dirReg: ; @fft_rtc_fwd_len1326_factors_17_6_13_wgs_204_tpt_102_halfLds_sp_ip_CI_unitstride_sbrr_R2C_dirReg
; %bb.0:
	s_load_dwordx2 s[2:3], s[4:5], 0x50
	s_load_dwordx4 s[8:11], s[4:5], 0x0
	s_load_dwordx2 s[12:13], s[4:5], 0x18
	v_mul_u32_u24_e32 v1, 0x283, v0
	v_lshrrev_b32_e32 v9, 16, v1
	v_mov_b32_e32 v3, 0
	s_waitcnt lgkmcnt(0)
	v_cmp_lt_u64_e64 s[0:1], s[10:11], 2
	v_mov_b32_e32 v1, 0
	v_lshl_add_u32 v5, s6, 1, v9
	v_mov_b32_e32 v6, v3
	s_and_b64 vcc, exec, s[0:1]
	v_mov_b32_e32 v2, 0
	s_cbranch_vccnz .LBB0_8
; %bb.1:
	s_load_dwordx2 s[0:1], s[4:5], 0x10
	s_add_u32 s6, s12, 8
	s_addc_u32 s7, s13, 0
	v_mov_b32_e32 v1, 0
	v_mov_b32_e32 v2, 0
	s_waitcnt lgkmcnt(0)
	s_add_u32 s14, s0, 8
	s_addc_u32 s15, s1, 0
	s_mov_b64 s[16:17], 1
.LBB0_2:                                ; =>This Inner Loop Header: Depth=1
	s_load_dwordx2 s[18:19], s[14:15], 0x0
                                        ; implicit-def: $vgpr7_vgpr8
	s_waitcnt lgkmcnt(0)
	v_or_b32_e32 v4, s19, v6
	v_cmp_ne_u64_e32 vcc, 0, v[3:4]
	s_and_saveexec_b64 s[0:1], vcc
	s_xor_b64 s[20:21], exec, s[0:1]
	s_cbranch_execz .LBB0_4
; %bb.3:                                ;   in Loop: Header=BB0_2 Depth=1
	v_cvt_f32_u32_e32 v4, s18
	v_cvt_f32_u32_e32 v7, s19
	s_sub_u32 s0, 0, s18
	s_subb_u32 s1, 0, s19
	v_mac_f32_e32 v4, 0x4f800000, v7
	v_rcp_f32_e32 v4, v4
	v_mul_f32_e32 v4, 0x5f7ffffc, v4
	v_mul_f32_e32 v7, 0x2f800000, v4
	v_trunc_f32_e32 v7, v7
	v_mac_f32_e32 v4, 0xcf800000, v7
	v_cvt_u32_f32_e32 v7, v7
	v_cvt_u32_f32_e32 v4, v4
	v_mul_lo_u32 v8, s0, v7
	v_mul_hi_u32 v10, s0, v4
	v_mul_lo_u32 v12, s1, v4
	v_mul_lo_u32 v11, s0, v4
	v_add_u32_e32 v8, v10, v8
	v_add_u32_e32 v8, v8, v12
	v_mul_hi_u32 v10, v4, v11
	v_mul_lo_u32 v12, v4, v8
	v_mul_hi_u32 v14, v4, v8
	v_mul_hi_u32 v13, v7, v11
	v_mul_lo_u32 v11, v7, v11
	v_mul_hi_u32 v15, v7, v8
	v_add_co_u32_e32 v10, vcc, v10, v12
	v_addc_co_u32_e32 v12, vcc, 0, v14, vcc
	v_mul_lo_u32 v8, v7, v8
	v_add_co_u32_e32 v10, vcc, v10, v11
	v_addc_co_u32_e32 v10, vcc, v12, v13, vcc
	v_addc_co_u32_e32 v11, vcc, 0, v15, vcc
	v_add_co_u32_e32 v8, vcc, v10, v8
	v_addc_co_u32_e32 v10, vcc, 0, v11, vcc
	v_add_co_u32_e32 v4, vcc, v4, v8
	v_addc_co_u32_e32 v7, vcc, v7, v10, vcc
	v_mul_lo_u32 v8, s0, v7
	v_mul_hi_u32 v10, s0, v4
	v_mul_lo_u32 v11, s1, v4
	v_mul_lo_u32 v12, s0, v4
	v_add_u32_e32 v8, v10, v8
	v_add_u32_e32 v8, v8, v11
	v_mul_lo_u32 v13, v4, v8
	v_mul_hi_u32 v14, v4, v12
	v_mul_hi_u32 v15, v4, v8
	;; [unrolled: 1-line block ×3, first 2 shown]
	v_mul_lo_u32 v12, v7, v12
	v_mul_hi_u32 v10, v7, v8
	v_add_co_u32_e32 v13, vcc, v14, v13
	v_addc_co_u32_e32 v14, vcc, 0, v15, vcc
	v_mul_lo_u32 v8, v7, v8
	v_add_co_u32_e32 v12, vcc, v13, v12
	v_addc_co_u32_e32 v11, vcc, v14, v11, vcc
	v_addc_co_u32_e32 v10, vcc, 0, v10, vcc
	v_add_co_u32_e32 v8, vcc, v11, v8
	v_addc_co_u32_e32 v10, vcc, 0, v10, vcc
	v_add_co_u32_e32 v4, vcc, v4, v8
	v_addc_co_u32_e32 v10, vcc, v7, v10, vcc
	v_mad_u64_u32 v[7:8], s[0:1], v5, v10, 0
	v_mul_hi_u32 v11, v5, v4
	v_add_co_u32_e32 v12, vcc, v11, v7
	v_addc_co_u32_e32 v13, vcc, 0, v8, vcc
	v_mad_u64_u32 v[7:8], s[0:1], v6, v4, 0
	v_mad_u64_u32 v[10:11], s[0:1], v6, v10, 0
	v_add_co_u32_e32 v4, vcc, v12, v7
	v_addc_co_u32_e32 v4, vcc, v13, v8, vcc
	v_addc_co_u32_e32 v7, vcc, 0, v11, vcc
	v_add_co_u32_e32 v4, vcc, v4, v10
	v_addc_co_u32_e32 v10, vcc, 0, v7, vcc
	v_mul_lo_u32 v11, s19, v4
	v_mul_lo_u32 v12, s18, v10
	v_mad_u64_u32 v[7:8], s[0:1], s18, v4, 0
	v_add3_u32 v8, v8, v12, v11
	v_sub_u32_e32 v11, v6, v8
	v_mov_b32_e32 v12, s19
	v_sub_co_u32_e32 v7, vcc, v5, v7
	v_subb_co_u32_e64 v11, s[0:1], v11, v12, vcc
	v_subrev_co_u32_e64 v12, s[0:1], s18, v7
	v_subbrev_co_u32_e64 v11, s[0:1], 0, v11, s[0:1]
	v_cmp_le_u32_e64 s[0:1], s19, v11
	v_cndmask_b32_e64 v13, 0, -1, s[0:1]
	v_cmp_le_u32_e64 s[0:1], s18, v12
	v_cndmask_b32_e64 v12, 0, -1, s[0:1]
	v_cmp_eq_u32_e64 s[0:1], s19, v11
	v_cndmask_b32_e64 v11, v13, v12, s[0:1]
	v_add_co_u32_e64 v12, s[0:1], 2, v4
	v_addc_co_u32_e64 v13, s[0:1], 0, v10, s[0:1]
	v_add_co_u32_e64 v14, s[0:1], 1, v4
	v_addc_co_u32_e64 v15, s[0:1], 0, v10, s[0:1]
	v_subb_co_u32_e32 v8, vcc, v6, v8, vcc
	v_cmp_ne_u32_e64 s[0:1], 0, v11
	v_cmp_le_u32_e32 vcc, s19, v8
	v_cndmask_b32_e64 v11, v15, v13, s[0:1]
	v_cndmask_b32_e64 v13, 0, -1, vcc
	v_cmp_le_u32_e32 vcc, s18, v7
	v_cndmask_b32_e64 v7, 0, -1, vcc
	v_cmp_eq_u32_e32 vcc, s19, v8
	v_cndmask_b32_e32 v7, v13, v7, vcc
	v_cmp_ne_u32_e32 vcc, 0, v7
	v_cndmask_b32_e64 v7, v14, v12, s[0:1]
	v_cndmask_b32_e32 v8, v10, v11, vcc
	v_cndmask_b32_e32 v7, v4, v7, vcc
.LBB0_4:                                ;   in Loop: Header=BB0_2 Depth=1
	s_andn2_saveexec_b64 s[0:1], s[20:21]
	s_cbranch_execz .LBB0_6
; %bb.5:                                ;   in Loop: Header=BB0_2 Depth=1
	v_cvt_f32_u32_e32 v4, s18
	s_sub_i32 s20, 0, s18
	v_rcp_iflag_f32_e32 v4, v4
	v_mul_f32_e32 v4, 0x4f7ffffe, v4
	v_cvt_u32_f32_e32 v4, v4
	v_mul_lo_u32 v7, s20, v4
	v_mul_hi_u32 v7, v4, v7
	v_add_u32_e32 v4, v4, v7
	v_mul_hi_u32 v4, v5, v4
	v_mul_lo_u32 v7, v4, s18
	v_add_u32_e32 v8, 1, v4
	v_sub_u32_e32 v7, v5, v7
	v_subrev_u32_e32 v10, s18, v7
	v_cmp_le_u32_e32 vcc, s18, v7
	v_cndmask_b32_e32 v7, v7, v10, vcc
	v_cndmask_b32_e32 v4, v4, v8, vcc
	v_add_u32_e32 v8, 1, v4
	v_cmp_le_u32_e32 vcc, s18, v7
	v_cndmask_b32_e32 v7, v4, v8, vcc
	v_mov_b32_e32 v8, v3
.LBB0_6:                                ;   in Loop: Header=BB0_2 Depth=1
	s_or_b64 exec, exec, s[0:1]
	v_mul_lo_u32 v4, v8, s18
	v_mul_lo_u32 v12, v7, s19
	v_mad_u64_u32 v[10:11], s[0:1], v7, s18, 0
	s_load_dwordx2 s[0:1], s[6:7], 0x0
	s_add_u32 s16, s16, 1
	v_add3_u32 v4, v11, v12, v4
	v_sub_co_u32_e32 v5, vcc, v5, v10
	v_subb_co_u32_e32 v4, vcc, v6, v4, vcc
	s_waitcnt lgkmcnt(0)
	v_mul_lo_u32 v4, s0, v4
	v_mul_lo_u32 v6, s1, v5
	v_mad_u64_u32 v[1:2], s[0:1], s0, v5, v[1:2]
	s_addc_u32 s17, s17, 0
	s_add_u32 s6, s6, 8
	v_add3_u32 v2, v6, v2, v4
	v_mov_b32_e32 v4, s10
	v_mov_b32_e32 v5, s11
	s_addc_u32 s7, s7, 0
	v_cmp_ge_u64_e32 vcc, s[16:17], v[4:5]
	s_add_u32 s14, s14, 8
	s_addc_u32 s15, s15, 0
	s_cbranch_vccnz .LBB0_9
; %bb.7:                                ;   in Loop: Header=BB0_2 Depth=1
	v_mov_b32_e32 v5, v7
	v_mov_b32_e32 v6, v8
	s_branch .LBB0_2
.LBB0_8:
	v_mov_b32_e32 v8, v6
	v_mov_b32_e32 v7, v5
.LBB0_9:
	s_lshl_b64 s[0:1], s[10:11], 3
	s_add_u32 s0, s12, s0
	s_addc_u32 s1, s13, s1
	s_load_dwordx2 s[6:7], s[0:1], 0x0
	s_load_dwordx2 s[10:11], s[4:5], 0x20
	v_and_b32_e32 v5, 1, v9
	v_mov_b32_e32 v6, 0x52f
	v_cmp_eq_u32_e32 vcc, 1, v5
	s_waitcnt lgkmcnt(0)
	v_mul_lo_u32 v3, s6, v8
	v_mul_lo_u32 v4, s7, v7
	v_mad_u64_u32 v[1:2], s[0:1], s6, v7, v[1:2]
	s_mov_b32 s0, 0x2828283
	v_add3_u32 v2, v4, v2, v3
	v_mul_hi_u32 v3, v0, s0
	v_cndmask_b32_e32 v4, 0, v6, vcc
	v_cmp_gt_u64_e64 s[0:1], s[10:11], v[7:8]
	v_lshlrev_b64 v[46:47], 3, v[1:2]
	v_mul_u32_u24_e32 v3, 0x66, v3
	v_sub_u32_e32 v44, v0, v3
	v_lshlrev_b32_e32 v53, 3, v4
	v_lshlrev_b32_e32 v51, 3, v44
	s_and_saveexec_b64 s[4:5], s[0:1]
	s_cbranch_execz .LBB0_11
; %bb.10:
	v_mov_b32_e32 v45, 0
	v_mov_b32_e32 v0, s3
	v_add_co_u32_e32 v2, vcc, s2, v46
	v_addc_co_u32_e32 v3, vcc, v0, v47, vcc
	v_lshlrev_b64 v[0:1], 3, v[44:45]
	s_movk_i32 s6, 0x1000
	v_add_co_u32_e32 v0, vcc, v2, v0
	v_addc_co_u32_e32 v1, vcc, v3, v1, vcc
	v_add_co_u32_e32 v4, vcc, s6, v0
	v_addc_co_u32_e32 v5, vcc, 0, v1, vcc
	v_add_co_u32_e32 v14, vcc, 0x2000, v0
	global_load_dwordx2 v[2:3], v[0:1], off offset:2448
	global_load_dwordx2 v[6:7], v[0:1], off offset:3264
	;; [unrolled: 1-line block ×5, first 2 shown]
	v_addc_co_u32_e32 v15, vcc, 0, v1, vcc
	global_load_dwordx2 v[16:17], v[0:1], off
	global_load_dwordx2 v[18:19], v[0:1], off offset:1632
	global_load_dwordx2 v[20:21], v[0:1], off offset:816
	;; [unrolled: 1-line block ×7, first 2 shown]
	v_add3_u32 v0, 0, v53, v51
	v_add_u32_e32 v1, 0x400, v0
	v_add_u32_e32 v4, 0x800, v0
	;; [unrolled: 1-line block ×5, first 2 shown]
	s_waitcnt vmcnt(6)
	ds_write2_b64 v1, v[18:19], v[2:3] offset0:76 offset1:178
	ds_write2_b64 v4, v[6:7], v[8:9] offset0:152 offset1:254
	s_waitcnt vmcnt(5)
	ds_write2_b64 v0, v[16:17], v[20:21] offset1:102
	ds_write2_b64 v5, v[10:11], v[12:13] offset0:100 offset1:202
	s_waitcnt vmcnt(3)
	ds_write2_b64 v14, v[22:23], v[24:25] offset0:48 offset1:150
	s_waitcnt vmcnt(1)
	;; [unrolled: 2-line block ×3, first 2 shown]
	ds_write_b64 v0, v[30:31] offset:9792
.LBB0_11:
	s_or_b64 exec, exec, s[4:5]
	v_add3_u32 v52, 0, v51, v53
	v_add_u32_e32 v0, 0x2000, v52
	s_waitcnt lgkmcnt(0)
	s_barrier
	ds_read2_b64 v[12:15], v52 offset0:78 offset1:156
	ds_read2_b64 v[16:19], v0 offset0:146 offset1:224
	v_add_u32_e32 v45, 0, v53
	v_add_u32_e32 v50, v45, v51
	ds_read_b64 v[2:3], v50
	v_add_u32_e32 v4, 0x400, v52
	s_waitcnt lgkmcnt(1)
	v_sub_f32_e32 v85, v13, v19
	v_add_u32_e32 v54, 0x1c00, v52
	ds_read2_b64 v[24:27], v4 offset0:106 offset1:184
	ds_read2_b64 v[20:23], v54 offset0:118 offset1:196
	v_mul_f32_e32 v63, 0xbeb8f4ab, v85
	v_sub_f32_e32 v87, v15, v17
	v_add_f32_e32 v55, v18, v12
	v_mov_b32_e32 v0, v63
	v_mul_f32_e32 v68, 0xbf2c7751, v87
	v_fmac_f32_e32 v0, 0x3f6eb680, v55
	v_add_f32_e32 v56, v16, v14
	v_mov_b32_e32 v1, v68
	v_sub_f32_e32 v90, v12, v18
	s_waitcnt lgkmcnt(2)
	v_add_f32_e32 v0, v2, v0
	v_fmac_f32_e32 v1, 0x3f3d2fb0, v56
	s_mov_b32 s6, 0x3f6eb680
	v_add_f32_e32 v57, v19, v13
	v_mul_f32_e32 v69, 0xbeb8f4ab, v90
	v_sub_f32_e32 v92, v14, v16
	v_add_f32_e32 v0, v1, v0
	v_fma_f32 v1, v57, s6, -v69
	s_mov_b32 s7, 0x3f3d2fb0
	v_add_f32_e32 v58, v17, v15
	v_mul_f32_e32 v72, 0xbf2c7751, v92
	s_waitcnt lgkmcnt(0)
	v_sub_f32_e32 v93, v25, v23
	v_add_f32_e32 v1, v3, v1
	v_fma_f32 v4, v58, s7, -v72
	v_mul_f32_e32 v73, 0xbf65296c, v93
	v_add_f32_e32 v1, v4, v1
	v_add_f32_e32 v60, v22, v24
	v_mov_b32_e32 v4, v73
	v_sub_f32_e32 v95, v24, v22
	v_fmac_f32_e32 v4, 0x3ee437d1, v60
	s_mov_b32 s10, 0x3ee437d1
	v_add_f32_e32 v61, v23, v25
	v_mul_f32_e32 v75, 0xbf65296c, v95
	v_sub_f32_e32 v96, v27, v21
	v_add_f32_e32 v0, v4, v0
	v_fma_f32 v4, v61, s10, -v75
	v_mul_f32_e32 v77, 0xbf7ee86f, v96
	v_add_f32_e32 v1, v4, v1
	v_add_f32_e32 v62, v20, v26
	v_mov_b32_e32 v4, v77
	v_fmac_f32_e32 v4, 0x3dbcf732, v62
	v_add_f32_e32 v0, v4, v0
	v_add_u32_e32 v4, 0x1800, v52
	v_add_u32_e32 v59, 0x800, v52
	ds_read2_b64 v[28:31], v4 offset0:90 offset1:168
	ds_read2_b64 v[32:35], v59 offset0:134 offset1:212
	v_sub_f32_e32 v109, v26, v20
	s_mov_b32 s11, 0x3dbcf732
	v_add_f32_e32 v64, v21, v27
	v_mul_f32_e32 v80, 0xbf7ee86f, v109
	s_waitcnt lgkmcnt(0)
	v_sub_f32_e32 v111, v33, v31
	v_add_u32_e32 v66, 0x1000, v52
	v_fma_f32 v4, v64, s11, -v80
	v_mul_f32_e32 v81, 0xbf763a35, v111
	v_add_u32_e32 v65, 0x1400, v52
	ds_read2_b64 v[40:43], v66 offset0:34 offset1:112
	ds_read2_b64 v[36:39], v65 offset0:62 offset1:140
	v_add_f32_e32 v1, v4, v1
	v_add_f32_e32 v67, v30, v32
	v_mov_b32_e32 v4, v81
	v_sub_f32_e32 v115, v32, v30
	v_fmac_f32_e32 v4, 0xbe8c1d8e, v67
	s_mov_b32 s12, 0xbe8c1d8e
	v_add_f32_e32 v70, v31, v33
	v_mul_f32_e32 v83, 0xbf763a35, v115
	v_sub_f32_e32 v116, v35, v29
	v_add_f32_e32 v0, v4, v0
	v_fma_f32 v4, v70, s12, -v83
	v_mul_f32_e32 v84, 0xbf4c4adb, v116
	v_add_f32_e32 v1, v4, v1
	v_add_f32_e32 v71, v28, v34
	v_mov_b32_e32 v4, v84
	v_sub_f32_e32 v125, v34, v28
	v_fmac_f32_e32 v4, 0xbf1a4643, v71
	s_mov_b32 s13, 0xbf1a4643
	v_add_f32_e32 v74, v29, v35
	v_mul_f32_e32 v86, 0xbf4c4adb, v125
	s_waitcnt lgkmcnt(0)
	v_sub_f32_e32 v126, v41, v39
	v_add_f32_e32 v0, v4, v0
	v_fma_f32 v4, v74, s13, -v86
	v_mul_f32_e32 v88, 0xbf06c442, v126
	v_add_f32_e32 v1, v4, v1
	v_add_f32_e32 v76, v38, v40
	v_mov_b32_e32 v4, v88
	v_sub_f32_e32 v135, v40, v38
	v_fmac_f32_e32 v4, 0xbf59a7d5, v76
	s_mov_b32 s15, 0xbf59a7d5
	v_add_f32_e32 v78, v39, v41
	v_mul_f32_e32 v89, 0xbf06c442, v135
	v_sub_f32_e32 v136, v43, v37
	v_add_f32_e32 v0, v4, v0
	v_fma_f32 v4, v78, s15, -v89
	v_mul_f32_e32 v91, 0xbe3c28d5, v136
	v_add_f32_e32 v1, v4, v1
	v_add_f32_e32 v79, v36, v42
	v_mov_b32_e32 v4, v91
	v_sub_f32_e32 v142, v42, v36
	s_mov_b32 s14, 0xbf7ba420
	v_fmac_f32_e32 v4, 0xbf7ba420, v79
	v_add_f32_e32 v82, v37, v43
	v_mul_f32_e32 v94, 0xbe3c28d5, v142
	v_mul_f32_e32 v97, 0xbf2c7751, v85
	v_fma_f32 v5, v82, s14, -v94
	v_add_f32_e32 v0, v4, v0
	v_mov_b32_e32 v4, v97
	v_mul_f32_e32 v98, 0xbf7ee86f, v87
	v_add_f32_e32 v1, v5, v1
	v_fmac_f32_e32 v4, 0x3f3d2fb0, v55
	v_mov_b32_e32 v5, v98
	v_add_f32_e32 v4, v2, v4
	v_fmac_f32_e32 v5, 0x3dbcf732, v56
	v_mul_f32_e32 v102, 0xbf2c7751, v90
	v_add_f32_e32 v4, v5, v4
	v_fma_f32 v5, v57, s7, -v102
	v_mul_f32_e32 v103, 0xbf7ee86f, v92
	v_add_f32_e32 v5, v3, v5
	v_fma_f32 v6, v58, s11, -v103
	v_mul_f32_e32 v99, 0xbf4c4adb, v93
	v_add_f32_e32 v5, v6, v5
	v_mov_b32_e32 v6, v99
	v_fmac_f32_e32 v6, 0xbf1a4643, v60
	v_mul_f32_e32 v105, 0xbf4c4adb, v95
	v_add_f32_e32 v4, v6, v4
	v_fma_f32 v6, v61, s13, -v105
	v_mul_f32_e32 v100, 0xbe3c28d5, v96
	v_add_f32_e32 v5, v6, v5
	v_mov_b32_e32 v6, v100
	v_fmac_f32_e32 v6, 0xbf7ba420, v62
	;; [unrolled: 7-line block ×6, first 2 shown]
	v_mul_f32_e32 v114, 0x3eb8f4ab, v142
	v_mul_f32_e32 v117, 0xbf65296c, v85
	v_fma_f32 v7, v82, s6, -v114
	v_add_f32_e32 v6, v6, v4
	v_mov_b32_e32 v4, v117
	v_mul_f32_e32 v118, 0xbf4c4adb, v87
	v_add_f32_e32 v7, v7, v5
	v_fmac_f32_e32 v4, 0x3ee437d1, v55
	v_mov_b32_e32 v5, v118
	v_add_f32_e32 v4, v2, v4
	v_fmac_f32_e32 v5, 0xbf1a4643, v56
	v_mul_f32_e32 v119, 0x3e3c28d5, v93
	v_add_f32_e32 v4, v5, v4
	v_mov_b32_e32 v5, v119
	v_fmac_f32_e32 v5, 0xbf7ba420, v60
	v_mul_f32_e32 v120, 0x3f763a35, v96
	v_add_f32_e32 v4, v5, v4
	v_mov_b32_e32 v5, v120
	;; [unrolled: 4-line block ×6, first 2 shown]
	v_fmac_f32_e32 v5, 0xbf59a7d5, v79
	v_mul_f32_e32 v127, 0xbf65296c, v90
	v_add_f32_e32 v4, v5, v4
	v_fma_f32 v5, v57, s10, -v127
	v_mul_f32_e32 v128, 0xbf4c4adb, v92
	v_add_f32_e32 v5, v3, v5
	v_fma_f32 v8, v58, s13, -v128
	;; [unrolled: 3-line block ×8, first 2 shown]
	v_mul_f32_e32 v137, 0xbf7ee86f, v85
	v_add_f32_e32 v5, v8, v5
	v_mov_b32_e32 v8, v137
	v_mul_f32_e32 v138, 0xbe3c28d5, v87
	v_fmac_f32_e32 v8, 0x3dbcf732, v55
	v_mov_b32_e32 v9, v138
	v_add_f32_e32 v8, v2, v8
	v_fmac_f32_e32 v9, 0xbf7ba420, v56
	v_mul_f32_e32 v144, 0xbf7ee86f, v90
	v_add_f32_e32 v8, v9, v8
	v_fma_f32 v9, v57, s11, -v144
	v_mul_f32_e32 v145, 0xbe3c28d5, v92
	v_add_f32_e32 v9, v3, v9
	v_fma_f32 v10, v58, s14, -v145
	v_mul_f32_e32 v139, 0x3f763a35, v93
	v_add_f32_e32 v9, v10, v9
	v_mov_b32_e32 v10, v139
	v_fmac_f32_e32 v10, 0xbe8c1d8e, v60
	v_mul_f32_e32 v147, 0x3f763a35, v95
	v_add_f32_e32 v8, v10, v8
	v_fma_f32 v10, v61, s12, -v147
	v_mul_f32_e32 v140, 0x3eb8f4ab, v96
	v_add_f32_e32 v9, v10, v9
	v_mov_b32_e32 v10, v140
	v_fmac_f32_e32 v10, 0x3f6eb680, v62
	;; [unrolled: 7-line block ×6, first 2 shown]
	v_mul_f32_e32 v153, 0x3f2c7751, v142
	v_mul_f32_e32 v160, 0xbf763a35, v85
	v_fma_f32 v11, v82, s7, -v153
	v_add_f32_e32 v10, v10, v8
	v_mov_b32_e32 v8, v160
	v_mul_f32_e32 v161, 0x3f06c442, v87
	v_add_f32_e32 v11, v11, v9
	v_fmac_f32_e32 v8, 0xbe8c1d8e, v55
	v_mov_b32_e32 v9, v161
	v_add_f32_e32 v8, v2, v8
	v_fmac_f32_e32 v9, 0xbf59a7d5, v56
	v_mul_f32_e32 v159, 0x3f2c7751, v93
	v_add_f32_e32 v8, v9, v8
	v_mov_b32_e32 v9, v159
	v_fmac_f32_e32 v9, 0x3f3d2fb0, v60
	v_mul_f32_e32 v158, 0xbf65296c, v96
	v_add_f32_e32 v8, v9, v8
	v_mov_b32_e32 v9, v158
	v_fmac_f32_e32 v9, 0x3ee437d1, v62
	v_mul_f32_e32 v157, 0xbe3c28d5, v111
	v_add_f32_e32 v8, v9, v8
	v_mov_b32_e32 v9, v157
	v_fmac_f32_e32 v9, 0xbf7ba420, v67
	v_mul_f32_e32 v156, 0x3f7ee86f, v116
	v_add_f32_e32 v8, v9, v8
	v_mov_b32_e32 v9, v156
	v_fmac_f32_e32 v9, 0x3dbcf732, v71
	v_mul_f32_e32 v155, 0xbeb8f4ab, v126
	v_add_f32_e32 v8, v9, v8
	v_mov_b32_e32 v9, v155
	v_fmac_f32_e32 v9, 0x3f6eb680, v76
	v_mul_f32_e32 v154, 0xbf4c4adb, v136
	v_add_f32_e32 v8, v9, v8
	v_mov_b32_e32 v9, v154
	v_fmac_f32_e32 v9, 0xbf1a4643, v79
	v_mul_f32_e32 v169, 0xbf763a35, v90
	v_add_f32_e32 v8, v9, v8
	v_fma_f32 v9, v57, s12, -v169
	v_mul_f32_e32 v168, 0x3f06c442, v92
	v_add_f32_e32 v9, v3, v9
	v_fma_f32 v48, v58, s15, -v168
	;; [unrolled: 3-line block ×8, first 2 shown]
	s_movk_i32 s4, 0x4e
	v_add_f32_e32 v9, v48, v9
	v_cmp_gt_u32_e32 vcc, s4, v44
	s_barrier
	s_and_saveexec_b64 s[4:5], vcc
	s_cbranch_execz .LBB0_13
; %bb.12:
	v_mul_f32_e32 v218, 0xbe3c28d5, v90
	v_mov_b32_e32 v48, v218
	v_mul_f32_e32 v219, 0x3eb8f4ab, v92
	v_fmac_f32_e32 v48, 0xbf7ba420, v57
	v_mov_b32_e32 v49, v219
	v_add_f32_e32 v48, v3, v48
	v_fmac_f32_e32 v49, 0x3f6eb680, v58
	v_mul_f32_e32 v220, 0xbf06c442, v95
	v_add_f32_e32 v48, v49, v48
	v_mov_b32_e32 v49, v220
	v_fmac_f32_e32 v49, 0xbf59a7d5, v61
	v_mul_f32_e32 v221, 0x3f2c7751, v109
	v_add_f32_e32 v48, v49, v48
	v_mov_b32_e32 v49, v221
	;; [unrolled: 4-line block ×6, first 2 shown]
	v_fmac_f32_e32 v49, 0x3dbcf732, v82
	v_mul_f32_e32 v226, 0xbe3c28d5, v85
	v_add_f32_e32 v49, v49, v48
	v_fma_f32 v48, v55, s14, -v226
	v_mul_f32_e32 v227, 0x3eb8f4ab, v87
	v_add_f32_e32 v48, v2, v48
	v_fma_f32 v170, v56, s6, -v227
	;; [unrolled: 3-line block ×8, first 2 shown]
	v_mul_f32_e32 v234, 0xbf06c442, v90
	v_add_f32_e32 v48, v170, v48
	v_mov_b32_e32 v170, v234
	v_mul_f32_e32 v235, 0x3f65296c, v92
	v_fmac_f32_e32 v170, 0xbf59a7d5, v57
	v_mov_b32_e32 v171, v235
	v_add_f32_e32 v170, v3, v170
	v_fmac_f32_e32 v171, 0x3ee437d1, v58
	v_mul_f32_e32 v236, 0xbf7ee86f, v95
	v_add_f32_e32 v170, v171, v170
	v_mov_b32_e32 v171, v236
	v_fmac_f32_e32 v171, 0x3dbcf732, v61
	v_mul_f32_e32 v237, 0x3f4c4adb, v109
	v_add_f32_e32 v170, v171, v170
	v_mov_b32_e32 v171, v237
	;; [unrolled: 4-line block ×6, first 2 shown]
	v_fmac_f32_e32 v171, 0xbe8c1d8e, v82
	v_mul_f32_e32 v242, 0xbf06c442, v85
	v_add_f32_e32 v171, v171, v170
	v_fma_f32 v170, v55, s15, -v242
	v_mul_f32_e32 v243, 0x3f65296c, v87
	v_add_f32_e32 v170, v2, v170
	v_fma_f32 v172, v56, s10, -v243
	;; [unrolled: 3-line block ×8, first 2 shown]
	v_mul_f32_e32 v90, 0xbf4c4adb, v90
	v_add_f32_e32 v170, v172, v170
	v_mov_b32_e32 v172, v90
	v_mul_f32_e32 v250, 0x3f763a35, v92
	v_fmac_f32_e32 v172, 0xbf1a4643, v57
	v_mov_b32_e32 v92, v250
	v_mul_f32_e32 v251, 0xbeb8f4ab, v95
	v_add_f32_e32 v172, v3, v172
	v_fmac_f32_e32 v92, 0xbe8c1d8e, v58
	v_mov_b32_e32 v95, v251
	v_add_f32_e32 v92, v92, v172
	v_fmac_f32_e32 v95, 0x3f6eb680, v61
	v_mul_f32_e32 v109, 0xbf06c442, v109
	v_add_f32_e32 v92, v95, v92
	v_mov_b32_e32 v95, v109
	v_fmac_f32_e32 v95, 0xbf59a7d5, v64
	v_mul_f32_e32 v252, 0x3f7ee86f, v115
	v_add_f32_e32 v92, v95, v92
	v_mov_b32_e32 v95, v252
	v_fmac_f32_e32 v95, 0x3dbcf732, v70
	v_mul_f32_e32 v125, 0xbf2c7751, v125
	v_add_f32_e32 v12, v2, v12
	v_add_f32_e32 v92, v95, v92
	v_mov_b32_e32 v95, v125
	v_add_f32_e32 v13, v3, v13
	v_add_f32_e32 v12, v12, v14
	v_fmac_f32_e32 v95, 0x3f3d2fb0, v74
	v_mul_f32_e32 v135, 0xbe3c28d5, v135
	v_add_f32_e32 v13, v13, v15
	v_add_f32_e32 v12, v12, v24
	v_add_f32_e32 v92, v95, v92
	v_mov_b32_e32 v95, v135
	v_add_f32_e32 v13, v13, v25
	v_add_f32_e32 v12, v12, v26
	v_fmac_f32_e32 v95, 0xbf7ba420, v78
	v_mul_f32_e32 v142, 0x3f65296c, v142
	v_add_f32_e32 v13, v13, v27
	;; [unrolled: 8-line block ×3, first 2 shown]
	v_add_f32_e32 v12, v12, v40
	v_add_f32_e32 v173, v95, v92
	v_fma_f32 v92, v55, s13, -v85
	v_mul_f32_e32 v87, 0x3f763a35, v87
	v_add_f32_e32 v13, v13, v41
	v_add_f32_e32 v12, v12, v42
	v_add_f32_e32 v92, v2, v92
	v_fma_f32 v95, v56, s12, -v87
	v_mul_f32_e32 v253, 0xbeb8f4ab, v93
	v_add_f32_e32 v13, v13, v43
	;; [unrolled: 5-line block ×7, first 2 shown]
	v_add_f32_e32 v12, v12, v22
	v_mul_f32_e32 v183, 0xbe8c1d8e, v57
	v_add_f32_e32 v92, v93, v92
	v_fma_f32 v93, v79, s10, -v136
	v_add_f32_e32 v13, v13, v23
	v_add_f32_e32 v12, v12, v16
	v_fma_f32 v14, v57, s14, -v218
	v_fma_f32 v16, v57, s15, -v234
	v_mul_f32_e32 v193, 0xbf59a7d5, v58
	v_add_f32_e32 v172, v93, v92
	v_add_f32_e32 v92, v169, v183
	;; [unrolled: 1-line block ×4, first 2 shown]
	v_fma_f32 v15, v58, s6, -v219
	v_add_f32_e32 v16, v3, v16
	v_fma_f32 v17, v58, s10, -v235
	v_mul_f32_e32 v182, 0xbe8c1d8e, v55
	v_mul_f32_e32 v203, 0x3f3d2fb0, v61
	v_add_f32_e32 v93, v168, v193
	v_add_f32_e32 v92, v3, v92
	;; [unrolled: 1-line block ×3, first 2 shown]
	v_fma_f32 v15, v61, s15, -v220
	v_add_f32_e32 v16, v17, v16
	v_fma_f32 v17, v61, s11, -v236
	v_mul_f32_e32 v192, 0xbf59a7d5, v56
	v_mul_f32_e32 v213, 0x3ee437d1, v64
	v_add_f32_e32 v92, v93, v92
	v_add_f32_e32 v167, v167, v203
	v_sub_f32_e32 v160, v182, v160
	v_add_f32_e32 v14, v15, v14
	v_fma_f32 v15, v64, s7, -v221
	v_add_f32_e32 v16, v17, v16
	v_fma_f32 v17, v64, s13, -v237
	v_mul_f32_e32 v175, 0x3f6eb680, v57
	v_mul_f32_e32 v177, 0x3f3d2fb0, v57
	;; [unrolled: 1-line block ×6, first 2 shown]
	v_add_f32_e32 v92, v167, v92
	v_add_f32_e32 v166, v166, v213
	v_sub_f32_e32 v161, v192, v161
	v_add_f32_e32 v160, v2, v160
	v_add_f32_e32 v14, v15, v14
	v_fma_f32 v15, v70, s13, -v222
	v_add_f32_e32 v16, v17, v16
	v_fma_f32 v17, v70, s6, -v238
	v_mul_f32_e32 v174, 0x3f6eb680, v55
	v_mul_f32_e32 v212, 0x3ee437d1, v62
	v_add_f32_e32 v92, v166, v92
	v_add_f32_e32 v165, v165, v168
	;; [unrolled: 1-line block ×3, first 2 shown]
	v_sub_f32_e32 v159, v202, v159
	v_add_f32_e32 v144, v144, v181
	v_add_f32_e32 v127, v127, v179
	;; [unrolled: 1-line block ×6, first 2 shown]
	v_fma_f32 v15, v74, s10, -v223
	v_add_f32_e32 v16, v17, v16
	v_fma_f32 v17, v74, s14, -v239
	v_fma_f32 v18, v57, s13, -v90
	v_mul_f32_e32 v176, 0x3f3d2fb0, v55
	v_mul_f32_e32 v178, 0x3ee437d1, v55
	;; [unrolled: 1-line block ×6, first 2 shown]
	v_add_f32_e32 v92, v165, v92
	v_mul_f32_e32 v165, 0x3dbcf732, v74
	v_add_f32_e32 v159, v159, v160
	v_sub_f32_e32 v158, v212, v158
	v_add_f32_e32 v144, v3, v144
	v_add_f32_e32 v127, v3, v127
	;; [unrolled: 1-line block ×4, first 2 shown]
	v_sub_f32_e32 v63, v174, v63
	v_add_f32_e32 v14, v15, v14
	v_fma_f32 v15, v78, s12, -v224
	v_add_f32_e32 v16, v17, v16
	v_fma_f32 v17, v78, s7, -v240
	;; [unrolled: 2-line block ×3, first 2 shown]
	v_mul_f32_e32 v186, 0x3dbcf732, v56
	v_mul_f32_e32 v187, 0x3dbcf732, v58
	;; [unrolled: 1-line block ×8, first 2 shown]
	v_add_f32_e32 v164, v164, v165
	v_mul_f32_e32 v183, 0x3dbcf732, v71
	v_add_f32_e32 v158, v158, v159
	v_sub_f32_e32 v93, v93, v157
	v_sub_f32_e32 v137, v180, v137
	;; [unrolled: 1-line block ×4, first 2 shown]
	v_add_f32_e32 v72, v72, v185
	v_add_f32_e32 v63, v2, v63
	v_sub_f32_e32 v68, v184, v68
	v_add_f32_e32 v14, v15, v14
	v_fma_f32 v15, v82, s11, -v225
	v_fmac_f32_e32 v226, 0xbf7ba420, v55
	v_add_f32_e32 v16, v17, v16
	v_fma_f32 v17, v82, s12, -v241
	v_fmac_f32_e32 v242, 0xbf59a7d5, v55
	;; [unrolled: 3-line block ×3, first 2 shown]
	v_mul_f32_e32 v196, 0xbf1a4643, v60
	v_mul_f32_e32 v197, 0xbf1a4643, v61
	;; [unrolled: 1-line block ×8, first 2 shown]
	v_add_f32_e32 v92, v164, v92
	v_mul_f32_e32 v164, 0x3f6eb680, v78
	v_add_f32_e32 v93, v93, v158
	v_sub_f32_e32 v156, v183, v156
	v_add_f32_e32 v145, v145, v191
	v_add_f32_e32 v137, v2, v137
	v_sub_f32_e32 v138, v190, v138
	v_add_f32_e32 v128, v128, v189
	;; [unrolled: 3-line block ×4, first 2 shown]
	v_add_f32_e32 v72, v75, v195
	v_add_f32_e32 v63, v68, v63
	v_sub_f32_e32 v68, v194, v73
	v_add_f32_e32 v15, v15, v14
	v_add_f32_e32 v14, v2, v226
	v_fmac_f32_e32 v227, 0x3f6eb680, v56
	v_add_f32_e32 v17, v17, v16
	v_add_f32_e32 v16, v2, v242
	v_fmac_f32_e32 v243, 0x3ee437d1, v56
	v_add_f32_e32 v3, v18, v3
	v_fma_f32 v18, v64, s15, -v109
	v_add_f32_e32 v2, v2, v85
	v_fmac_f32_e32 v87, 0xbe8c1d8e, v56
	v_mul_f32_e32 v206, 0xbf7ba420, v62
	v_mul_f32_e32 v207, 0xbf7ba420, v64
	v_mul_f32_e32 v208, 0xbe8c1d8e, v62
	v_mul_f32_e32 v209, 0xbe8c1d8e, v64
	v_mul_f32_e32 v210, 0x3f6eb680, v62
	v_mul_f32_e32 v211, 0x3f6eb680, v64
	v_mul_f32_e32 v214, 0xbe8c1d8e, v67
	v_mul_f32_e32 v215, 0xbe8c1d8e, v70
	v_add_f32_e32 v163, v163, v164
	v_add_f32_e32 v93, v156, v93
	v_mul_f32_e32 v156, 0x3f6eb680, v76
	v_add_f32_e32 v144, v145, v144
	v_add_f32_e32 v147, v147, v201
	v_add_f32_e32 v137, v138, v137
	v_sub_f32_e32 v138, v200, v139
	v_add_f32_e32 v127, v128, v127
	v_add_f32_e32 v128, v129, v199
	v_add_f32_e32 v117, v118, v117
	v_sub_f32_e32 v118, v198, v119
	;; [unrolled: 4-line block ×4, first 2 shown]
	v_add_f32_e32 v14, v227, v14
	v_fmac_f32_e32 v228, 0xbf59a7d5, v60
	v_add_f32_e32 v16, v243, v16
	v_fmac_f32_e32 v244, 0x3dbcf732, v60
	v_add_f32_e32 v3, v18, v3
	v_fma_f32 v18, v70, s11, -v252
	v_add_f32_e32 v2, v87, v2
	v_fmac_f32_e32 v253, 0x3f6eb680, v60
	v_mul_f32_e32 v216, 0xbf59a7d5, v67
	v_mul_f32_e32 v217, 0xbf59a7d5, v70
	;; [unrolled: 1-line block ×8, first 2 shown]
	v_add_f32_e32 v92, v163, v92
	v_mul_f32_e32 v163, 0xbf1a4643, v82
	v_sub_f32_e32 v155, v156, v155
	v_add_f32_e32 v144, v147, v144
	v_add_f32_e32 v147, v148, v211
	v_add_f32_e32 v137, v138, v137
	v_sub_f32_e32 v138, v210, v140
	v_add_f32_e32 v127, v128, v127
	v_add_f32_e32 v128, v130, v209
	v_add_f32_e32 v117, v118, v117
	;; [unrolled: 4-line block ×4, first 2 shown]
	v_sub_f32_e32 v68, v214, v81
	v_add_f32_e32 v14, v228, v14
	v_fmac_f32_e32 v229, 0x3f3d2fb0, v62
	v_add_f32_e32 v16, v244, v16
	v_fmac_f32_e32 v245, 0xbf1a4643, v62
	v_add_f32_e32 v3, v18, v3
	v_fma_f32 v18, v74, s7, -v125
	v_add_f32_e32 v2, v253, v2
	v_fmac_f32_e32 v254, 0xbf59a7d5, v62
	v_mul_f32_e32 v166, 0xbe8c1d8e, v71
	v_mul_f32_e32 v168, 0xbe8c1d8e, v74
	;; [unrolled: 1-line block ×4, first 2 shown]
	v_add_f32_e32 v162, v162, v163
	v_mul_f32_e32 v163, 0xbf59a7d5, v71
	v_mul_f32_e32 v182, 0xbf59a7d5, v74
	v_mul_f32_e32 v161, 0xbf59a7d5, v76
	v_mul_f32_e32 v192, 0xbf59a7d5, v78
	v_add_f32_e32 v155, v155, v93
	v_mul_f32_e32 v93, 0xbf1a4643, v79
	v_add_f32_e32 v144, v147, v144
	v_add_f32_e32 v96, v150, v96
	v_add_f32_e32 v137, v138, v137
	v_sub_f32_e32 v95, v95, v141
	v_add_f32_e32 v127, v128, v127
	v_add_f32_e32 v116, v131, v116
	v_add_f32_e32 v117, v118, v117
	v_sub_f32_e32 v115, v115, v121
	;; [unrolled: 4-line block ×4, first 2 shown]
	v_add_f32_e32 v14, v229, v14
	v_fmac_f32_e32 v230, 0xbf1a4643, v67
	v_add_f32_e32 v16, v245, v16
	v_fmac_f32_e32 v246, 0x3f6eb680, v67
	v_add_f32_e32 v3, v18, v3
	v_fma_f32 v18, v78, s14, -v135
	v_add_f32_e32 v2, v254, v2
	v_fmac_f32_e32 v111, 0x3dbcf732, v67
	v_mul_f32_e32 v160, 0x3ee437d1, v76
	v_mul_f32_e32 v193, 0x3ee437d1, v78
	;; [unrolled: 1-line block ×7, first 2 shown]
	v_sub_f32_e32 v154, v93, v154
	v_mul_f32_e32 v202, 0xbf7ba420, v82
	v_add_f32_e32 v96, v96, v144
	v_add_f32_e32 v144, v151, v182
	v_add_f32_e32 v95, v95, v137
	v_sub_f32_e32 v137, v163, v143
	v_add_f32_e32 v116, v116, v127
	v_add_f32_e32 v127, v132, v164
	v_add_f32_e32 v115, v115, v117
	v_sub_f32_e32 v117, v165, v122
	;; [unrolled: 4-line block ×4, first 2 shown]
	v_add_f32_e32 v14, v230, v14
	v_fmac_f32_e32 v231, 0x3ee437d1, v71
	v_add_f32_e32 v16, v246, v16
	v_fmac_f32_e32 v247, 0xbf7ba420, v71
	v_add_f32_e32 v3, v18, v3
	v_fma_f32 v18, v82, s10, -v142
	v_add_f32_e32 v2, v111, v2
	v_fmac_f32_e32 v255, 0x3f3d2fb0, v71
	v_add_f32_e32 v93, v162, v92
	v_add_f32_e32 v92, v154, v155
	v_mul_f32_e32 v154, 0x3f6eb680, v79
	v_mul_f32_e32 v155, 0x3f6eb680, v82
	;; [unrolled: 1-line block ×6, first 2 shown]
	v_add_f32_e32 v96, v144, v96
	v_add_f32_e32 v144, v152, v183
	v_add_f32_e32 v95, v137, v95
	v_sub_f32_e32 v137, v158, v146
	v_add_f32_e32 v116, v127, v116
	v_add_f32_e32 v127, v133, v157
	v_add_f32_e32 v115, v117, v115
	v_sub_f32_e32 v117, v159, v123
	;; [unrolled: 4-line block ×4, first 2 shown]
	v_add_f32_e32 v14, v231, v14
	v_fmac_f32_e32 v232, 0xbe8c1d8e, v76
	v_add_f32_e32 v16, v247, v16
	v_fmac_f32_e32 v248, 0x3f3d2fb0, v76
	v_add_f32_e32 v3, v18, v3
	v_add_f32_e32 v2, v255, v2
	v_fmac_f32_e32 v126, 0xbf7ba420, v76
	v_mul_u32_u24_e32 v18, 0x88, v44
	v_add_f32_e32 v96, v144, v96
	v_add_f32_e32 v144, v153, v191
	v_add_f32_e32 v95, v137, v95
	v_sub_f32_e32 v137, v145, v149
	v_add_f32_e32 v116, v127, v116
	v_add_f32_e32 v127, v134, v181
	v_add_f32_e32 v115, v117, v115
	v_sub_f32_e32 v117, v162, v124
	;; [unrolled: 4-line block ×3, first 2 shown]
	v_add_f32_e32 v69, v72, v69
	v_add_f32_e32 v68, v68, v63
	;; [unrolled: 1-line block ×4, first 2 shown]
	v_fmac_f32_e32 v233, 0x3dbcf732, v79
	v_add_f32_e32 v16, v248, v16
	v_fmac_f32_e32 v249, 0xbe8c1d8e, v79
	v_add_f32_e32 v2, v126, v2
	v_fmac_f32_e32 v136, 0x3ee437d1, v79
	v_add3_u32 v18, 0, v18, v53
	v_add_f32_e32 v96, v144, v96
	v_add_f32_e32 v95, v137, v95
	;; [unrolled: 1-line block ×9, first 2 shown]
	ds_write2_b64 v18, v[12:13], v[68:69] offset1:1
	ds_write2_b64 v18, v[101:102], v[115:116] offset0:2 offset1:3
	ds_write2_b64 v18, v[95:96], v[92:93] offset0:4 offset1:5
	;; [unrolled: 1-line block ×7, first 2 shown]
	ds_write_b64 v18, v[0:1] offset:128
.LBB0_13:
	s_or_b64 exec, exec, s[4:5]
	s_waitcnt lgkmcnt(0)
	s_barrier
	ds_read2_b64 v[12:15], v52 offset0:102 offset1:221
	ds_read2_b64 v[16:19], v59 offset0:67 offset1:186
	;; [unrolled: 1-line block ×5, first 2 shown]
	ds_read_b64 v[32:33], v50
	ds_read_b64 v[34:35], v52 offset:9656
	v_cmp_gt_u32_e32 vcc, 17, v44
	s_and_saveexec_b64 s[4:5], vcc
	s_cbranch_execz .LBB0_15
; %bb.14:
	v_add_u32_e32 v0, 0x600, v52
	ds_read2_b64 v[8:11], v0 offset0:12 offset1:233
	v_add_u32_e32 v0, 0x1400, v52
	ds_read2_b64 v[4:7], v0 offset0:6 offset1:227
	v_add_u32_e32 v0, 0x2200, v52
	ds_read2_b64 v[0:3], v0 offset1:221
.LBB0_15:
	s_or_b64 exec, exec, s[4:5]
	s_movk_i32 s4, 0xf1
	v_mul_lo_u16_sdwa v36, v44, s4 dst_sel:DWORD dst_unused:UNUSED_PAD src0_sel:BYTE_0 src1_sel:DWORD
	v_lshrrev_b16_e32 v64, 12, v36
	v_add_u16_e32 v54, 0x66, v44
	v_mul_lo_u16_e32 v36, 17, v64
	v_mul_lo_u16_sdwa v55, v54, s4 dst_sel:DWORD dst_unused:UNUSED_PAD src0_sel:BYTE_0 src1_sel:DWORD
	v_sub_u16_e32 v65, v44, v36
	v_mov_b32_e32 v48, 5
	v_lshrrev_b16_e32 v66, 12, v55
	v_mul_u32_u24_sdwa v36, v65, v48 dst_sel:DWORD dst_unused:UNUSED_PAD src0_sel:BYTE_0 src1_sel:DWORD
	v_mul_lo_u16_e32 v55, 17, v66
	v_lshlrev_b32_e32 v49, 3, v36
	v_sub_u16_e32 v67, v54, v55
	global_load_dwordx4 v[36:39], v49, s[8:9]
	global_load_dwordx4 v[40:43], v49, s[8:9] offset:16
	v_mul_u32_u24_sdwa v54, v67, v48 dst_sel:DWORD dst_unused:UNUSED_PAD src0_sel:BYTE_0 src1_sel:DWORD
	global_load_dwordx2 v[48:49], v49, s[8:9] offset:32
	v_lshlrev_b32_e32 v68, 3, v54
	global_load_dwordx4 v[54:57], v68, s[8:9]
	global_load_dwordx4 v[58:61], v68, s[8:9] offset:16
	global_load_dwordx2 v[62:63], v68, s[8:9] offset:32
	s_movk_i32 s4, 0x330
	s_waitcnt vmcnt(0) lgkmcnt(0)
	s_barrier
	v_mul_f32_e32 v68, v37, v15
	v_mul_f32_e32 v37, v37, v14
	;; [unrolled: 1-line block ×11, first 2 shown]
	v_fmac_f32_e32 v37, v36, v15
	v_fmac_f32_e32 v39, v38, v19
	v_fma_f32 v15, v40, v22, -v70
	v_fma_f32 v19, v48, v30, -v72
	v_mul_f32_e32 v73, v55, v17
	v_mul_f32_e32 v55, v55, v16
	;; [unrolled: 1-line block ×6, first 2 shown]
	v_fma_f32 v68, v36, v14, -v68
	v_fma_f32 v14, v38, v18, -v69
	v_fmac_f32_e32 v41, v40, v23
	v_fma_f32 v18, v42, v26, -v71
	v_fmac_f32_e32 v43, v42, v27
	v_fmac_f32_e32 v49, v48, v31
	v_fma_f32 v27, v58, v24, -v75
	v_add_f32_e32 v24, v15, v19
	v_mul_f32_e32 v63, v34, v63
	v_fmac_f32_e32 v55, v54, v17
	v_fmac_f32_e32 v61, v29, v60
	v_fma_f32 v29, v34, v62, -v77
	v_add_f32_e32 v17, v14, v18
	v_add_f32_e32 v23, v68, v15
	;; [unrolled: 1-line block ×3, first 2 shown]
	v_fmac_f32_e32 v68, -0.5, v24
	v_mul_f32_e32 v74, v57, v21
	v_mul_f32_e32 v57, v57, v20
	v_fma_f32 v31, v54, v16, -v73
	v_fmac_f32_e32 v59, v58, v25
	v_add_f32_e32 v16, v32, v14
	v_add_f32_e32 v22, v39, v43
	v_sub_f32_e32 v25, v41, v49
	v_add_f32_e32 v30, v37, v41
	v_fma_f32 v32, -0.5, v17, v32
	v_fmac_f32_e32 v37, -0.5, v34
	v_mov_b32_e32 v17, v68
	v_fmac_f32_e32 v57, v56, v21
	v_add_f32_e32 v21, v33, v39
	v_sub_f32_e32 v15, v15, v19
	v_fmac_f32_e32 v33, -0.5, v22
	v_add_f32_e32 v22, v23, v19
	v_mov_b32_e32 v19, v37
	v_fmac_f32_e32 v17, 0x3f5db3d7, v25
	v_sub_f32_e32 v14, v14, v18
	v_add_f32_e32 v23, v30, v49
	v_mov_b32_e32 v30, v33
	v_fmac_f32_e32 v68, 0xbf5db3d7, v25
	v_fmac_f32_e32 v19, 0xbf5db3d7, v15
	v_mul_f32_e32 v36, 0xbf5db3d7, v17
	v_fma_f32 v26, v56, v20, -v74
	v_sub_f32_e32 v20, v39, v43
	v_add_f32_e32 v21, v21, v43
	v_mov_b32_e32 v24, v32
	v_fmac_f32_e32 v37, 0x3f5db3d7, v15
	v_fmac_f32_e32 v30, 0xbf5db3d7, v14
	v_mul_f32_e32 v25, 0x3f5db3d7, v19
	v_mul_f32_e32 v34, -0.5, v68
	v_fmac_f32_e32 v36, 0.5, v19
	v_fma_f32 v28, v28, v60, -v76
	v_fmac_f32_e32 v63, v35, v62
	v_add_f32_e32 v35, v16, v18
	v_fmac_f32_e32 v32, 0xbf5db3d7, v20
	v_fmac_f32_e32 v24, 0x3f5db3d7, v20
	v_fmac_f32_e32 v25, 0.5, v17
	v_fmac_f32_e32 v34, 0x3f5db3d7, v37
	v_add_f32_e32 v15, v21, v23
	v_add_f32_e32 v17, v30, v36
	v_sub_f32_e32 v21, v21, v23
	v_sub_f32_e32 v23, v30, v36
	v_add_f32_e32 v30, v12, v26
	v_fmac_f32_e32 v33, 0x3f5db3d7, v14
	v_add_f32_e32 v14, v35, v22
	v_add_f32_e32 v16, v24, v25
	;; [unrolled: 1-line block ×3, first 2 shown]
	v_mul_f32_e32 v37, -0.5, v37
	v_sub_f32_e32 v20, v35, v22
	v_sub_f32_e32 v22, v24, v25
	;; [unrolled: 1-line block ×3, first 2 shown]
	v_add_f32_e32 v32, v30, v28
	v_add_f32_e32 v30, v26, v28
	v_fmac_f32_e32 v37, 0xbf5db3d7, v68
	v_fma_f32 v12, -0.5, v30, v12
	v_add_f32_e32 v19, v33, v37
	v_sub_f32_e32 v25, v33, v37
	v_sub_f32_e32 v30, v57, v61
	v_mov_b32_e32 v33, v12
	v_fmac_f32_e32 v33, 0x3f5db3d7, v30
	v_fmac_f32_e32 v12, 0xbf5db3d7, v30
	v_add_f32_e32 v30, v13, v57
	v_add_f32_e32 v35, v30, v61
	v_add_f32_e32 v30, v57, v61
	v_fmac_f32_e32 v13, -0.5, v30
	v_sub_f32_e32 v26, v26, v28
	v_mov_b32_e32 v36, v13
	v_fmac_f32_e32 v36, 0xbf5db3d7, v26
	v_fmac_f32_e32 v13, 0x3f5db3d7, v26
	v_add_f32_e32 v26, v31, v27
	v_add_f32_e32 v34, v26, v29
	v_add_f32_e32 v26, v27, v29
	v_fmac_f32_e32 v31, -0.5, v26
	;; [unrolled: 8-line block ×3, first 2 shown]
	v_sub_f32_e32 v26, v27, v29
	v_mov_b32_e32 v29, v55
	v_fmac_f32_e32 v29, 0xbf5db3d7, v26
	v_mul_f32_e32 v39, 0x3f5db3d7, v29
	v_fmac_f32_e32 v39, 0.5, v37
	v_mul_f32_e32 v37, 0xbf5db3d7, v37
	v_fmac_f32_e32 v37, 0.5, v29
	v_fmac_f32_e32 v55, 0x3f5db3d7, v26
	v_add_f32_e32 v26, v32, v34
	v_add_f32_e32 v28, v33, v39
	;; [unrolled: 1-line block ×4, first 2 shown]
	v_sub_f32_e32 v32, v32, v34
	v_sub_f32_e32 v34, v33, v39
	;; [unrolled: 1-line block ×4, first 2 shown]
	v_mov_b32_e32 v37, 3
	v_mad_u32_u24 v36, v64, s4, 0
	v_lshlrev_b32_sdwa v38, v37, v65 dst_sel:DWORD dst_unused:UNUSED_PAD src0_sel:DWORD src1_sel:BYTE_0
	v_add3_u32 v36, v36, v38, v53
	v_mul_f32_e32 v40, -0.5, v31
	v_mul_f32_e32 v41, -0.5, v55
	ds_write2_b64 v36, v[14:15], v[16:17] offset1:17
	ds_write2_b64 v36, v[18:19], v[20:21] offset0:34 offset1:51
	ds_write2_b64 v36, v[22:23], v[24:25] offset0:68 offset1:85
	v_mad_u32_u24 v14, v66, s4, 0
	v_lshlrev_b32_sdwa v15, v37, v67 dst_sel:DWORD dst_unused:UNUSED_PAD src0_sel:DWORD src1_sel:BYTE_0
	v_fmac_f32_e32 v40, 0x3f5db3d7, v55
	v_fmac_f32_e32 v41, 0xbf5db3d7, v31
	v_add3_u32 v14, v14, v15, v53
	v_add_f32_e32 v30, v12, v40
	v_add_f32_e32 v31, v13, v41
	v_sub_f32_e32 v12, v12, v40
	v_sub_f32_e32 v13, v13, v41
	ds_write2_b64 v14, v[26:27], v[28:29] offset1:17
	ds_write2_b64 v14, v[30:31], v[32:33] offset0:34 offset1:51
	ds_write2_b64 v14, v[34:35], v[12:13] offset0:68 offset1:85
	s_and_saveexec_b64 s[4:5], vcc
	s_cbranch_execz .LBB0_17
; %bb.16:
	v_add_u32_e32 v12, 0xcc, v44
	s_mov_b32 s6, 0xf0f1
	v_mul_u32_u24_sdwa v13, v12, s6 dst_sel:DWORD dst_unused:UNUSED_PAD src0_sel:WORD_0 src1_sel:DWORD
	v_lshrrev_b32_e32 v13, 20, v13
	v_mul_lo_u16_e32 v13, 17, v13
	v_sub_u16_e32 v22, v12, v13
	v_mul_u32_u24_e32 v12, 5, v22
	v_lshlrev_b32_e32 v23, 3, v12
	global_load_dwordx4 v[12:15], v23, s[8:9]
	global_load_dwordx4 v[16:19], v23, s[8:9] offset:16
	global_load_dwordx2 v[20:21], v23, s[8:9] offset:32
	v_lshlrev_b32_e32 v22, 3, v22
	v_add3_u32 v22, 0, v22, v53
	v_add_u32_e32 v23, 0x2000, v22
	v_add_u32_e32 v22, 0x2800, v22
	s_waitcnt vmcnt(2)
	v_mul_f32_e32 v24, v5, v15
	s_waitcnt vmcnt(1)
	v_mul_f32_e32 v25, v1, v19
	v_mul_f32_e32 v15, v4, v15
	;; [unrolled: 1-line block ×4, first 2 shown]
	s_waitcnt vmcnt(0)
	v_mul_f32_e32 v28, v3, v21
	v_mul_f32_e32 v17, v6, v17
	;; [unrolled: 1-line block ×5, first 2 shown]
	v_fmac_f32_e32 v15, v5, v14
	v_fmac_f32_e32 v19, v1, v18
	v_fma_f32 v5, v6, v16, -v27
	v_fma_f32 v2, v2, v20, -v28
	v_fmac_f32_e32 v17, v7, v16
	v_fmac_f32_e32 v21, v3, v20
	v_fma_f32 v1, v10, v12, -v26
	v_fmac_f32_e32 v13, v11, v12
	v_add_f32_e32 v3, v15, v19
	v_add_f32_e32 v7, v5, v2
	;; [unrolled: 1-line block ×3, first 2 shown]
	v_fma_f32 v4, v4, v14, -v24
	v_fma_f32 v0, v0, v18, -v25
	v_sub_f32_e32 v10, v17, v21
	v_sub_f32_e32 v11, v5, v2
	v_add_f32_e32 v14, v9, v15
	v_add_f32_e32 v16, v13, v17
	;; [unrolled: 1-line block ×3, first 2 shown]
	v_fma_f32 v9, -0.5, v3, v9
	v_fma_f32 v7, -0.5, v7, v1
	;; [unrolled: 1-line block ×3, first 2 shown]
	v_sub_f32_e32 v6, v4, v0
	v_add_f32_e32 v17, v4, v0
	v_add_f32_e32 v3, v14, v19
	;; [unrolled: 1-line block ×4, first 2 shown]
	v_mov_b32_e32 v14, v9
	v_mov_b32_e32 v5, v7
	;; [unrolled: 1-line block ×3, first 2 shown]
	v_fmac_f32_e32 v12, 0xbf5db3d7, v11
	v_fmac_f32_e32 v7, 0x3f5db3d7, v10
	v_sub_f32_e32 v15, v15, v19
	v_add_f32_e32 v4, v8, v4
	v_fma_f32 v8, -0.5, v17, v8
	v_fmac_f32_e32 v9, 0xbf5db3d7, v6
	v_fmac_f32_e32 v14, 0x3f5db3d7, v6
	;; [unrolled: 1-line block ×4, first 2 shown]
	v_mul_f32_e32 v6, 0xbf5db3d7, v7
	v_mul_f32_e32 v10, 0x3f5db3d7, v12
	v_add_f32_e32 v4, v4, v0
	v_mov_b32_e32 v17, v8
	v_fmac_f32_e32 v8, 0x3f5db3d7, v15
	v_mul_f32_e32 v11, -0.5, v16
	v_fmac_f32_e32 v6, 0.5, v12
	v_mul_f32_e32 v12, -0.5, v5
	v_fmac_f32_e32 v10, 0.5, v7
	v_sub_f32_e32 v1, v3, v13
	v_sub_f32_e32 v0, v4, v2
	v_add_f32_e32 v3, v3, v13
	v_add_f32_e32 v2, v4, v2
	v_fmac_f32_e32 v17, 0xbf5db3d7, v15
	v_fmac_f32_e32 v11, 0xbf5db3d7, v5
	v_sub_f32_e32 v5, v9, v6
	v_fmac_f32_e32 v12, 0x3f5db3d7, v16
	v_add_f32_e32 v7, v9, v6
	v_add_f32_e32 v6, v8, v10
	v_sub_f32_e32 v4, v8, v10
	v_sub_f32_e32 v9, v14, v11
	;; [unrolled: 1-line block ×3, first 2 shown]
	v_add_f32_e32 v11, v14, v11
	v_add_f32_e32 v10, v17, v12
	ds_write2_b64 v23, v[2:3], v[6:7] offset0:200 offset1:217
	ds_write2_b64 v23, v[10:11], v[0:1] offset0:234 offset1:251
	;; [unrolled: 1-line block ×3, first 2 shown]
.LBB0_17:
	s_or_b64 exec, exec, s[4:5]
	v_mul_u32_u24_e32 v0, 12, v44
	v_lshlrev_b32_e32 v0, 3, v0
	s_waitcnt lgkmcnt(0)
	s_barrier
	global_load_dwordx4 v[2:5], v0, s[8:9] offset:680
	global_load_dwordx4 v[6:9], v0, s[8:9] offset:696
	;; [unrolled: 1-line block ×6, first 2 shown]
	ds_read_b64 v[42:43], v50
	ds_read2_b64 v[26:29], v52 offset0:102 offset1:204
	v_add_u32_e32 v1, 0x800, v52
	v_add_u32_e32 v34, 0xc00, v52
	;; [unrolled: 1-line block ×5, first 2 shown]
	ds_read2_b64 v[30:33], v1 offset0:50 offset1:152
	ds_read2_b64 v[34:37], v34 offset0:126 offset1:228
	ds_read2_b64 v[38:41], v38 offset0:74 offset1:176
	ds_read2_b64 v[53:56], v0 offset0:150 offset1:252
	ds_read2_b64 v[57:60], v48 offset0:98 offset1:200
	s_mov_b32 s6, 0x3f62ad3f
	s_mov_b32 s5, 0x3f116cb1
	;; [unrolled: 1-line block ×6, first 2 shown]
	s_waitcnt vmcnt(0) lgkmcnt(0)
	s_barrier
	v_cmp_ne_u32_e32 vcc, 0, v44
	v_mul_f32_e32 v48, v3, v27
	v_mul_f32_e32 v49, v3, v26
	;; [unrolled: 1-line block ×3, first 2 shown]
	v_fma_f32 v26, v2, v26, -v48
	v_mul_f32_e32 v5, v5, v28
	v_mul_f32_e32 v61, v7, v31
	v_fmac_f32_e32 v49, v2, v27
	v_fma_f32 v27, v4, v28, -v3
	v_add_f32_e32 v2, v26, v42
	v_mul_f32_e32 v7, v7, v30
	v_mul_f32_e32 v62, v9, v33
	v_fmac_f32_e32 v5, v4, v29
	v_fma_f32 v4, v6, v30, -v61
	v_add_f32_e32 v3, v49, v43
	v_add_f32_e32 v2, v2, v27
	v_mul_f32_e32 v9, v9, v32
	v_mul_f32_e32 v63, v35, v11
	v_fmac_f32_e32 v7, v6, v31
	v_fma_f32 v6, v8, v32, -v62
	v_add_f32_e32 v3, v3, v5
	;; [unrolled: 6-line block ×9, first 2 shown]
	v_add_f32_e32 v2, v2, v18
	v_mul_f32_e32 v25, v59, v25
	v_fmac_f32_e32 v23, v58, v22
	v_fma_f32 v22, v59, v24, -v70
	v_add_f32_e32 v3, v3, v21
	v_add_f32_e32 v2, v2, v20
	v_fmac_f32_e32 v25, v60, v24
	v_add_f32_e32 v24, v26, v22
	v_add_f32_e32 v3, v3, v23
	;; [unrolled: 1-line block ×3, first 2 shown]
	v_sub_f32_e32 v22, v26, v22
	v_add_f32_e32 v3, v3, v25
	v_add_f32_e32 v28, v49, v25
	v_sub_f32_e32 v25, v49, v25
	v_mul_f32_e32 v30, 0xbeedf032, v22
	v_mul_f32_e32 v34, 0xbf52af12, v22
	;; [unrolled: 1-line block ×7, first 2 shown]
	v_mov_b32_e32 v31, v30
	v_mul_f32_e32 v32, 0xbf52af12, v25
	v_mov_b32_e32 v35, v34
	v_mul_f32_e32 v36, 0xbf7e222b, v25
	;; [unrolled: 2-line block ×5, first 2 shown]
	v_mov_b32_e32 v58, v22
	v_fmac_f32_e32 v31, 0x3f62ad3f, v28
	v_fma_f32 v30, v28, s6, -v30
	v_fmac_f32_e32 v35, 0x3f116cb1, v28
	v_fma_f32 v34, v28, s5, -v34
	;; [unrolled: 2-line block ×5, first 2 shown]
	v_fma_f32 v57, v24, s11, -v25
	v_fmac_f32_e32 v58, 0xbf788fa5, v28
	v_fmac_f32_e32 v25, 0xbf788fa5, v24
	v_fma_f32 v22, v28, s11, -v22
	v_add_f32_e32 v28, v5, v23
	v_sub_f32_e32 v5, v5, v23
	v_fma_f32 v29, v24, s6, -v26
	v_fmac_f32_e32 v26, 0x3f62ad3f, v24
	v_fma_f32 v33, v24, s5, -v32
	v_fmac_f32_e32 v32, 0x3f116cb1, v24
	;; [unrolled: 2-line block ×5, first 2 shown]
	v_add_f32_e32 v24, v25, v42
	v_add_f32_e32 v25, v27, v20
	v_mul_f32_e32 v23, 0xbf52af12, v5
	v_add_f32_e32 v29, v29, v42
	v_sub_f32_e32 v20, v27, v20
	v_fma_f32 v27, v25, s5, -v23
	v_add_f32_e32 v26, v26, v42
	v_add_f32_e32 v27, v27, v29
	v_mul_f32_e32 v29, 0xbf52af12, v20
	v_fmac_f32_e32 v23, 0x3f116cb1, v25
	v_add_f32_e32 v30, v30, v43
	v_add_f32_e32 v33, v33, v42
	;; [unrolled: 1-line block ×10, first 2 shown]
	v_mov_b32_e32 v42, v29
	v_add_f32_e32 v23, v23, v26
	v_fma_f32 v26, v28, s5, -v29
	v_mul_f32_e32 v29, 0xbf6f5d39, v5
	v_add_f32_e32 v26, v26, v30
	v_fma_f32 v30, v25, s7, -v29
	v_add_f32_e32 v31, v31, v43
	v_fmac_f32_e32 v42, 0x3f116cb1, v28
	v_add_f32_e32 v30, v30, v33
	v_mul_f32_e32 v33, 0xbf6f5d39, v20
	v_fmac_f32_e32 v29, 0xbeb58ec6, v25
	v_add_f32_e32 v34, v34, v43
	v_add_f32_e32 v31, v42, v31
	v_mov_b32_e32 v42, v33
	v_add_f32_e32 v29, v29, v32
	v_fma_f32 v32, v28, s7, -v33
	v_mul_f32_e32 v33, 0xbe750f2a, v5
	v_add_f32_e32 v32, v32, v34
	v_fma_f32 v34, v25, s11, -v33
	v_add_f32_e32 v35, v35, v43
	v_fmac_f32_e32 v42, 0xbeb58ec6, v28
	v_add_f32_e32 v34, v34, v37
	v_mul_f32_e32 v37, 0xbe750f2a, v20
	v_fmac_f32_e32 v33, 0xbf788fa5, v25
	v_add_f32_e32 v38, v38, v43
	v_add_f32_e32 v35, v42, v35
	v_mov_b32_e32 v42, v37
	v_add_f32_e32 v33, v33, v36
	v_fma_f32 v36, v28, s11, -v37
	v_mul_f32_e32 v37, 0x3f29c268, v5
	v_add_f32_e32 v36, v36, v38
	v_fma_f32 v38, v25, s10, -v37
	v_add_f32_e32 v39, v39, v43
	v_fmac_f32_e32 v42, 0xbf788fa5, v28
	v_add_f32_e32 v38, v38, v41
	v_mul_f32_e32 v41, 0x3f29c268, v20
	v_fmac_f32_e32 v37, 0xbf3f9e67, v25
	v_add_f32_e32 v39, v42, v39
	v_mov_b32_e32 v42, v41
	v_add_f32_e32 v37, v37, v40
	v_fma_f32 v40, v28, s10, -v41
	v_mul_f32_e32 v41, 0x3f7e222b, v5
	v_add_f32_e32 v49, v49, v43
	v_add_f32_e32 v48, v48, v43
	;; [unrolled: 1-line block ×6, first 2 shown]
	v_fma_f32 v43, v25, s4, -v41
	v_fmac_f32_e32 v41, 0x3df6dbef, v25
	v_mul_f32_e32 v5, 0x3eedf032, v5
	v_add_f32_e32 v40, v40, v48
	v_mul_f32_e32 v48, 0x3f7e222b, v20
	v_add_f32_e32 v41, v41, v53
	v_fma_f32 v53, v25, s6, -v5
	v_mul_f32_e32 v20, 0x3eedf032, v20
	v_fmac_f32_e32 v5, 0x3f62ad3f, v25
	v_add_f32_e32 v43, v43, v54
	v_mov_b32_e32 v54, v20
	v_add_f32_e32 v5, v5, v24
	v_fma_f32 v20, v28, s6, -v20
	v_add_f32_e32 v24, v7, v21
	v_sub_f32_e32 v7, v7, v21
	v_add_f32_e32 v20, v20, v22
	v_add_f32_e32 v22, v4, v18
	v_sub_f32_e32 v4, v4, v18
	v_mul_f32_e32 v18, 0xbf7e222b, v7
	v_fmac_f32_e32 v42, 0xbf3f9e67, v28
	v_fma_f32 v21, v22, s4, -v18
	v_mul_f32_e32 v25, 0xbf7e222b, v4
	v_fmac_f32_e32 v18, 0x3df6dbef, v22
	v_add_f32_e32 v42, v42, v49
	v_mov_b32_e32 v49, v48
	v_add_f32_e32 v21, v21, v27
	v_mov_b32_e32 v27, v25
	v_add_f32_e32 v18, v18, v23
	v_fma_f32 v23, v24, s4, -v25
	v_mul_f32_e32 v25, 0xbe750f2a, v7
	v_fmac_f32_e32 v49, 0x3df6dbef, v28
	v_fma_f32 v48, v28, s4, -v48
	v_fmac_f32_e32 v54, 0x3f62ad3f, v28
	v_add_f32_e32 v23, v23, v26
	v_fma_f32 v26, v22, s11, -v25
	v_mul_f32_e32 v28, 0xbe750f2a, v4
	v_fmac_f32_e32 v25, 0xbf788fa5, v22
	v_fmac_f32_e32 v27, 0x3df6dbef, v24
	v_add_f32_e32 v26, v26, v30
	v_mov_b32_e32 v30, v28
	v_add_f32_e32 v25, v25, v29
	v_fma_f32 v28, v24, s11, -v28
	v_mul_f32_e32 v29, 0x3f6f5d39, v7
	v_add_f32_e32 v27, v27, v31
	v_add_f32_e32 v28, v28, v32
	v_fma_f32 v31, v22, s7, -v29
	v_mul_f32_e32 v32, 0x3f6f5d39, v4
	v_fmac_f32_e32 v29, 0xbeb58ec6, v22
	v_fmac_f32_e32 v30, 0xbf788fa5, v24
	v_add_f32_e32 v31, v31, v34
	v_mov_b32_e32 v34, v32
	v_add_f32_e32 v29, v29, v33
	v_fma_f32 v32, v24, s7, -v32
	v_mul_f32_e32 v33, 0x3eedf032, v7
	v_add_f32_e32 v30, v30, v35
	;; [unrolled: 11-line block ×3, first 2 shown]
	v_add_f32_e32 v36, v36, v40
	v_fma_f32 v39, v22, s5, -v37
	v_mul_f32_e32 v40, 0xbf52af12, v4
	v_mul_f32_e32 v4, 0xbf29c268, v4
	v_add_f32_e32 v39, v39, v43
	v_fmac_f32_e32 v37, 0x3f116cb1, v22
	v_mul_f32_e32 v7, 0xbf29c268, v7
	v_mov_b32_e32 v43, v4
	v_fma_f32 v4, v24, s10, -v4
	v_add_f32_e32 v37, v37, v41
	v_fma_f32 v41, v22, s10, -v7
	v_fmac_f32_e32 v7, 0xbf3f9e67, v22
	v_add_f32_e32 v4, v4, v20
	v_add_f32_e32 v20, v9, v19
	v_sub_f32_e32 v9, v9, v19
	v_add_f32_e32 v5, v7, v5
	v_add_f32_e32 v7, v6, v16
	v_sub_f32_e32 v6, v6, v16
	v_mul_f32_e32 v16, 0xbf6f5d39, v9
	v_fma_f32 v19, v7, s7, -v16
	v_add_f32_e32 v19, v19, v21
	v_mul_f32_e32 v21, 0xbf6f5d39, v6
	v_fmac_f32_e32 v16, 0xbeb58ec6, v7
	v_fmac_f32_e32 v38, 0x3f62ad3f, v24
	v_mov_b32_e32 v22, v21
	v_add_f32_e32 v16, v16, v18
	v_fma_f32 v18, v20, s7, -v21
	v_mul_f32_e32 v21, 0x3f29c268, v9
	v_add_f32_e32 v38, v38, v42
	v_mov_b32_e32 v42, v40
	v_add_f32_e32 v18, v18, v23
	v_fma_f32 v23, v7, s10, -v21
	v_fmac_f32_e32 v21, 0xbf3f9e67, v7
	v_fmac_f32_e32 v42, 0x3f116cb1, v24
	v_fma_f32 v40, v24, s5, -v40
	v_fmac_f32_e32 v43, 0xbf3f9e67, v24
	v_fmac_f32_e32 v22, 0xbeb58ec6, v20
	v_mul_f32_e32 v24, 0x3f29c268, v6
	v_add_f32_e32 v21, v21, v25
	v_mul_f32_e32 v25, 0x3eedf032, v9
	v_add_f32_e32 v22, v22, v27
	v_add_f32_e32 v23, v23, v26
	v_mov_b32_e32 v26, v24
	v_fma_f32 v24, v20, s10, -v24
	v_fma_f32 v27, v7, s6, -v25
	v_fmac_f32_e32 v25, 0x3f62ad3f, v7
	v_fmac_f32_e32 v26, 0xbf3f9e67, v20
	v_add_f32_e32 v24, v24, v28
	v_mul_f32_e32 v28, 0x3eedf032, v6
	v_add_f32_e32 v25, v25, v29
	v_mul_f32_e32 v29, 0xbf7e222b, v9
	v_add_f32_e32 v26, v26, v30
	v_add_f32_e32 v27, v27, v31
	v_mov_b32_e32 v30, v28
	v_fma_f32 v28, v20, s6, -v28
	v_fma_f32 v31, v7, s4, -v29
	v_fmac_f32_e32 v29, 0x3df6dbef, v7
	v_fmac_f32_e32 v30, 0x3f62ad3f, v20
	v_add_f32_e32 v28, v28, v32
	v_mul_f32_e32 v32, 0xbf7e222b, v6
	v_add_f32_e32 v29, v29, v33
	v_mul_f32_e32 v33, 0x3e750f2a, v9
	v_add_f32_e32 v30, v30, v34
	v_add_f32_e32 v31, v31, v35
	v_mov_b32_e32 v34, v32
	v_fma_f32 v32, v20, s4, -v32
	v_fma_f32 v35, v7, s11, -v33
	v_fmac_f32_e32 v33, 0xbf788fa5, v7
	v_mul_f32_e32 v9, 0x3f52af12, v9
	v_add_f32_e32 v32, v32, v36
	v_mul_f32_e32 v36, 0x3e750f2a, v6
	v_add_f32_e32 v33, v33, v37
	v_fma_f32 v37, v7, s5, -v9
	v_mul_f32_e32 v6, 0x3f52af12, v6
	v_fmac_f32_e32 v9, 0x3f116cb1, v7
	v_add_f32_e32 v35, v35, v39
	v_mov_b32_e32 v39, v6
	v_add_f32_e32 v5, v9, v5
	v_fma_f32 v6, v20, s5, -v6
	v_sub_f32_e32 v9, v11, v17
	v_add_f32_e32 v4, v6, v4
	v_add_f32_e32 v6, v8, v14
	;; [unrolled: 1-line block ×3, first 2 shown]
	v_sub_f32_e32 v8, v8, v14
	v_mul_f32_e32 v11, 0xbf29c268, v9
	v_fmac_f32_e32 v34, 0x3df6dbef, v20
	v_fma_f32 v14, v6, s10, -v11
	v_mul_f32_e32 v17, 0xbf29c268, v8
	v_add_f32_e32 v34, v34, v38
	v_mov_b32_e32 v38, v36
	v_add_f32_e32 v14, v14, v19
	v_mov_b32_e32 v19, v17
	v_fmac_f32_e32 v11, 0xbf3f9e67, v6
	v_fmac_f32_e32 v38, 0xbf788fa5, v20
	v_fma_f32 v36, v20, s11, -v36
	v_fmac_f32_e32 v39, 0x3f116cb1, v20
	v_fmac_f32_e32 v19, 0xbf3f9e67, v7
	v_add_f32_e32 v11, v11, v16
	v_fma_f32 v16, v7, s10, -v17
	v_mul_f32_e32 v17, 0x3f7e222b, v9
	v_mul_f32_e32 v20, 0x3f7e222b, v8
	v_add_f32_e32 v19, v19, v22
	v_add_f32_e32 v16, v16, v18
	v_fma_f32 v18, v6, s4, -v17
	v_mov_b32_e32 v22, v20
	v_fmac_f32_e32 v17, 0x3df6dbef, v6
	v_fma_f32 v20, v7, s4, -v20
	v_fmac_f32_e32 v22, 0x3df6dbef, v7
	v_add_f32_e32 v17, v17, v21
	v_add_f32_e32 v20, v20, v24
	v_mul_f32_e32 v21, 0xbf52af12, v9
	v_mul_f32_e32 v24, 0xbf52af12, v8
	v_add_f32_e32 v18, v18, v23
	v_add_f32_e32 v22, v22, v26
	v_fma_f32 v23, v6, s5, -v21
	v_mov_b32_e32 v26, v24
	v_fmac_f32_e32 v21, 0x3f116cb1, v6
	v_fma_f32 v24, v7, s5, -v24
	v_fmac_f32_e32 v26, 0x3f116cb1, v7
	v_add_f32_e32 v21, v21, v25
	v_add_f32_e32 v24, v24, v28
	v_mul_f32_e32 v25, 0x3e750f2a, v9
	v_mul_f32_e32 v28, 0x3e750f2a, v8
	v_add_f32_e32 v23, v23, v27
	v_add_f32_e32 v26, v26, v30
	v_fma_f32 v27, v6, s11, -v25
	v_mov_b32_e32 v30, v28
	v_fmac_f32_e32 v25, 0xbf788fa5, v6
	v_fma_f32 v28, v7, s11, -v28
	v_add_f32_e32 v49, v49, v56
	v_add_f32_e32 v48, v48, v55
	v_add_f32_e32 v53, v53, v57
	v_fmac_f32_e32 v30, 0xbf788fa5, v7
	v_add_f32_e32 v25, v25, v29
	v_add_f32_e32 v28, v28, v32
	v_mul_f32_e32 v29, 0x3eedf032, v9
	v_mul_f32_e32 v32, 0x3eedf032, v8
	v_add_f32_e32 v54, v54, v58
	v_add_f32_e32 v42, v42, v49
	v_add_f32_e32 v40, v40, v48
	v_add_f32_e32 v41, v41, v53
	v_add_f32_e32 v27, v27, v31
	v_add_f32_e32 v30, v30, v34
	v_fma_f32 v31, v6, s6, -v29
	v_mov_b32_e32 v34, v32
	v_fmac_f32_e32 v29, 0x3f62ad3f, v6
	v_mul_f32_e32 v9, 0xbf6f5d39, v9
	v_mul_f32_e32 v8, 0xbf6f5d39, v8
	v_add_f32_e32 v43, v43, v54
	v_add_f32_e32 v38, v38, v42
	;; [unrolled: 1-line block ×5, first 2 shown]
	v_fmac_f32_e32 v34, 0x3f62ad3f, v7
	v_add_f32_e32 v29, v29, v33
	v_fma_f32 v32, v7, s6, -v32
	v_fma_f32 v33, v6, s7, -v9
	v_mov_b32_e32 v35, v8
	v_fmac_f32_e32 v9, 0xbeb58ec6, v6
	v_sub_f32_e32 v41, v13, v15
	v_add_f32_e32 v39, v39, v43
	v_add_f32_e32 v34, v34, v38
	;; [unrolled: 1-line block ×3, first 2 shown]
	v_fmac_f32_e32 v35, 0xbeb58ec6, v7
	v_add_f32_e32 v36, v9, v5
	v_fma_f32 v5, v7, s7, -v8
	v_add_f32_e32 v38, v10, v12
	v_sub_f32_e32 v40, v10, v12
	v_mul_f32_e32 v6, 0xbe750f2a, v41
	v_mul_f32_e32 v10, 0x3eedf032, v41
	v_add_f32_e32 v33, v33, v37
	v_add_f32_e32 v35, v35, v39
	v_add_f32_e32 v37, v5, v4
	v_add_f32_e32 v39, v13, v15
	v_fma_f32 v4, v38, s11, -v6
	v_mul_f32_e32 v7, 0xbe750f2a, v40
	v_fmac_f32_e32 v6, 0xbf788fa5, v38
	v_fma_f32 v8, v38, s6, -v10
	v_add_f32_e32 v4, v4, v14
	v_mov_b32_e32 v5, v7
	v_add_f32_e32 v6, v6, v11
	v_fma_f32 v7, v39, s11, -v7
	v_add_f32_e32 v8, v8, v18
	v_mul_f32_e32 v11, 0x3eedf032, v40
	v_mul_f32_e32 v14, 0xbf29c268, v41
	;; [unrolled: 1-line block ×4, first 2 shown]
	v_fmac_f32_e32 v5, 0xbf788fa5, v39
	v_add_f32_e32 v7, v7, v16
	v_mov_b32_e32 v9, v11
	v_fma_f32 v12, v38, s10, -v14
	v_mov_b32_e32 v13, v15
	v_fma_f32 v16, v38, s5, -v18
	v_add_f32_e32 v5, v5, v19
	v_fmac_f32_e32 v9, 0x3f62ad3f, v39
	v_fmac_f32_e32 v10, 0x3f62ad3f, v38
	v_add_f32_e32 v12, v12, v23
	v_fmac_f32_e32 v13, 0xbf3f9e67, v39
	v_fmac_f32_e32 v14, 0xbf3f9e67, v38
	v_add_f32_e32 v16, v16, v27
	v_mul_f32_e32 v19, 0x3f52af12, v40
	v_fmac_f32_e32 v18, 0x3f116cb1, v38
	v_mul_f32_e32 v23, 0xbf6f5d39, v40
	v_mul_f32_e32 v27, 0x3f7e222b, v40
	v_add_f32_e32 v9, v9, v22
	v_add_f32_e32 v10, v10, v17
	v_fma_f32 v11, v39, s6, -v11
	v_add_f32_e32 v13, v13, v26
	v_add_f32_e32 v14, v14, v21
	v_fma_f32 v15, v39, s10, -v15
	v_mov_b32_e32 v17, v19
	v_add_f32_e32 v18, v18, v25
	v_mul_f32_e32 v22, 0xbf6f5d39, v41
	v_mov_b32_e32 v21, v23
	v_mul_f32_e32 v26, 0x3f7e222b, v41
	v_mov_b32_e32 v25, v27
	v_add_f32_e32 v11, v11, v20
	v_add_f32_e32 v15, v15, v24
	v_fmac_f32_e32 v17, 0x3f116cb1, v39
	v_fma_f32 v20, v38, s7, -v22
	v_fmac_f32_e32 v21, 0xbeb58ec6, v39
	v_fma_f32 v24, v38, s4, -v26
	v_fmac_f32_e32 v25, 0x3df6dbef, v39
	v_fmac_f32_e32 v26, 0x3df6dbef, v38
	v_fma_f32 v27, v39, s4, -v27
	ds_write2_b64 v52, v[2:3], v[4:5] offset1:102
	v_add_u32_e32 v2, 0x400, v52
	v_add_f32_e32 v17, v17, v30
	v_fma_f32 v19, v39, s5, -v19
	v_add_f32_e32 v20, v20, v31
	v_add_f32_e32 v21, v21, v34
	v_fmac_f32_e32 v22, 0xbeb58ec6, v38
	v_fma_f32 v23, v39, s7, -v23
	v_add_f32_e32 v24, v24, v33
	v_add_f32_e32 v25, v25, v35
	;; [unrolled: 1-line block ×4, first 2 shown]
	ds_write2_b64 v2, v[8:9], v[12:13] offset0:76 offset1:178
	ds_write2_b64 v1, v[16:17], v[20:21] offset0:152 offset1:254
	v_add_u32_e32 v1, 0x1000, v52
	v_add_f32_e32 v19, v19, v28
	v_add_f32_e32 v22, v22, v29
	;; [unrolled: 1-line block ×3, first 2 shown]
	ds_write2_b64 v1, v[24:25], v[26:27] offset0:100 offset1:202
	ds_write2_b64 v0, v[22:23], v[18:19] offset0:48 offset1:150
	v_add_u32_e32 v0, 0x1c00, v52
	ds_write2_b64 v0, v[14:15], v[10:11] offset0:124 offset1:226
	ds_write_b64 v52, v[6:7] offset:9792
	s_waitcnt lgkmcnt(0)
	s_barrier
	ds_read_b64 v[0:1], v50
	s_add_u32 s6, s8, 0x28e8
	s_addc_u32 s7, s9, 0
	v_sub_u32_e32 v6, v45, v51
                                        ; implicit-def: $vgpr5
                                        ; implicit-def: $vgpr7
                                        ; implicit-def: $vgpr2_vgpr3
	s_and_saveexec_b64 s[4:5], vcc
	s_xor_b64 s[4:5], exec, s[4:5]
	s_cbranch_execz .LBB0_19
; %bb.18:
	v_mov_b32_e32 v45, 0
	v_lshlrev_b64 v[2:3], 3, v[44:45]
	v_mov_b32_e32 v4, s7
	v_add_co_u32_e32 v2, vcc, s6, v2
	v_addc_co_u32_e32 v3, vcc, v4, v3, vcc
	global_load_dwordx2 v[2:3], v[2:3], off
	ds_read_b64 v[4:5], v6 offset:10608
	s_waitcnt lgkmcnt(0)
	v_add_f32_e32 v8, v4, v0
	v_sub_f32_e32 v0, v0, v4
	v_add_f32_e32 v7, v5, v1
	v_sub_f32_e32 v1, v1, v5
	v_mul_f32_e32 v0, 0.5, v0
	v_mul_f32_e32 v4, 0.5, v7
	;; [unrolled: 1-line block ×3, first 2 shown]
	s_waitcnt vmcnt(0)
	v_mul_f32_e32 v5, v3, v0
	v_fma_f32 v7, v4, v3, v1
	v_fma_f32 v1, v4, v3, -v1
	v_fma_f32 v3, 0.5, v8, v5
	v_fma_f32 v8, v8, 0.5, -v5
	v_fmac_f32_e32 v3, v2, v4
	v_fma_f32 v7, -v2, v0, v7
	v_fma_f32 v5, -v2, v0, v1
	;; [unrolled: 1-line block ×3, first 2 shown]
	ds_write_b32 v50, v3
	v_mov_b32_e32 v2, v44
	v_mov_b32_e32 v3, v45
                                        ; implicit-def: $vgpr0_vgpr1
                                        ; implicit-def: $vgpr45
.LBB0_19:
	s_andn2_saveexec_b64 s[4:5], s[4:5]
	s_cbranch_execz .LBB0_21
; %bb.20:
	ds_read_b32 v5, v45 offset:5308
	s_waitcnt lgkmcnt(1)
	v_add_f32_e32 v7, v0, v1
	v_mov_b32_e32 v2, 0
	ds_write_b32 v50, v7
	v_mov_b32_e32 v7, 0
	v_sub_f32_e32 v4, v0, v1
	v_mov_b32_e32 v3, 0
	s_waitcnt lgkmcnt(1)
	v_xor_b32_e32 v0, 0x80000000, v5
	v_mov_b32_e32 v5, v7
	ds_write_b32 v45, v0 offset:5308
.LBB0_21:
	s_or_b64 exec, exec, s[4:5]
	s_waitcnt lgkmcnt(0)
	v_lshlrev_b64 v[0:1], 3, v[2:3]
	v_mov_b32_e32 v3, s7
	v_add_co_u32_e32 v2, vcc, s6, v0
	v_addc_co_u32_e32 v3, vcc, v3, v1, vcc
	global_load_dwordx2 v[8:9], v[2:3], off offset:816
	global_load_dwordx2 v[10:11], v[2:3], off offset:1632
	;; [unrolled: 1-line block ×3, first 2 shown]
	ds_write_b32 v50, v7 offset:4
	ds_write_b64 v6, v[4:5] offset:10608
	ds_read_b64 v[4:5], v50 offset:816
	ds_read_b64 v[14:15], v6 offset:9792
	global_load_dwordx2 v[16:17], v[2:3], off offset:3264
	v_cmp_gt_u32_e32 vcc, 51, v44
	s_waitcnt lgkmcnt(0)
	v_add_f32_e32 v7, v4, v14
	v_sub_f32_e32 v4, v4, v14
	v_add_f32_e32 v18, v5, v15
	v_sub_f32_e32 v5, v5, v15
	v_mul_f32_e32 v15, 0.5, v4
	v_mul_f32_e32 v14, 0.5, v18
	;; [unrolled: 1-line block ×3, first 2 shown]
	s_waitcnt vmcnt(3)
	v_mul_f32_e32 v18, v9, v15
	v_fma_f32 v5, v14, v9, v4
	v_fma_f32 v9, v14, v9, -v4
	v_fma_f32 v4, 0.5, v7, v18
	v_fma_f32 v5, -v8, v15, v5
	v_fma_f32 v7, v7, 0.5, -v18
	v_fmac_f32_e32 v4, v8, v14
	v_fma_f32 v9, -v8, v15, v9
	v_fma_f32 v8, -v8, v14, v7
	ds_write_b64 v50, v[4:5] offset:816
	ds_write_b64 v6, v[8:9] offset:9792
	ds_read_b64 v[4:5], v50 offset:1632
	ds_read_b64 v[7:8], v6 offset:8976
	global_load_dwordx2 v[14:15], v[2:3], off offset:4080
	s_waitcnt lgkmcnt(0)
	v_add_f32_e32 v9, v4, v7
	v_sub_f32_e32 v4, v4, v7
	v_add_f32_e32 v18, v5, v8
	v_sub_f32_e32 v5, v5, v8
	v_mul_f32_e32 v8, 0.5, v4
	v_mul_f32_e32 v7, 0.5, v18
	v_mul_f32_e32 v4, 0.5, v5
	s_waitcnt vmcnt(3)
	v_mul_f32_e32 v18, v11, v8
	v_fma_f32 v5, v7, v11, v4
	v_fma_f32 v11, v7, v11, -v4
	v_fma_f32 v4, 0.5, v9, v18
	v_fma_f32 v5, -v10, v8, v5
	v_fma_f32 v9, v9, 0.5, -v18
	v_fmac_f32_e32 v4, v10, v7
	v_fma_f32 v8, -v10, v8, v11
	v_fma_f32 v7, -v10, v7, v9
	ds_write_b64 v50, v[4:5] offset:1632
	ds_write_b64 v6, v[7:8] offset:8976
	ds_read_b64 v[4:5], v50 offset:2448
	ds_read_b64 v[7:8], v6 offset:8160
	s_waitcnt lgkmcnt(0)
	v_add_f32_e32 v9, v4, v7
	v_sub_f32_e32 v4, v4, v7
	v_add_f32_e32 v10, v5, v8
	v_sub_f32_e32 v5, v5, v8
	v_mul_f32_e32 v8, 0.5, v4
	v_mul_f32_e32 v7, 0.5, v10
	v_mul_f32_e32 v4, 0.5, v5
	s_waitcnt vmcnt(2)
	v_mul_f32_e32 v10, v13, v8
	v_fma_f32 v5, v7, v13, v4
	v_fma_f32 v11, v7, v13, -v4
	v_fma_f32 v4, 0.5, v9, v10
	v_fma_f32 v5, -v12, v8, v5
	v_fma_f32 v9, v9, 0.5, -v10
	v_fmac_f32_e32 v4, v12, v7
	v_fma_f32 v8, -v12, v8, v11
	v_fma_f32 v7, -v12, v7, v9
	ds_write_b64 v50, v[4:5] offset:2448
	ds_write_b64 v6, v[7:8] offset:8160
	ds_read_b64 v[4:5], v50 offset:3264
	ds_read_b64 v[7:8], v6 offset:7344
	;; [unrolled: 22-line block ×3, first 2 shown]
	s_waitcnt lgkmcnt(0)
	v_add_f32_e32 v9, v4, v7
	v_sub_f32_e32 v4, v4, v7
	v_add_f32_e32 v10, v5, v8
	v_sub_f32_e32 v5, v5, v8
	v_mul_f32_e32 v8, 0.5, v4
	v_mul_f32_e32 v7, 0.5, v10
	;; [unrolled: 1-line block ×3, first 2 shown]
	s_waitcnt vmcnt(0)
	v_mul_f32_e32 v10, v15, v8
	v_fma_f32 v5, v7, v15, v4
	v_fma_f32 v11, v7, v15, -v4
	v_fma_f32 v4, 0.5, v9, v10
	v_fma_f32 v5, -v14, v8, v5
	v_fma_f32 v9, v9, 0.5, -v10
	v_fmac_f32_e32 v4, v14, v7
	v_fma_f32 v8, -v14, v8, v11
	v_fma_f32 v7, -v14, v7, v9
	ds_write_b64 v50, v[4:5] offset:4080
	ds_write_b64 v6, v[7:8] offset:6528
	s_and_saveexec_b64 s[4:5], vcc
	s_cbranch_execz .LBB0_23
; %bb.22:
	v_add_co_u32_e32 v2, vcc, 0x1000, v2
	v_addc_co_u32_e32 v3, vcc, 0, v3, vcc
	global_load_dwordx2 v[2:3], v[2:3], off offset:800
	ds_read_b64 v[4:5], v50 offset:4896
	ds_read_b64 v[7:8], v6 offset:5712
	s_waitcnt lgkmcnt(0)
	v_add_f32_e32 v9, v4, v7
	v_sub_f32_e32 v4, v4, v7
	v_add_f32_e32 v10, v5, v8
	v_sub_f32_e32 v5, v5, v8
	v_mul_f32_e32 v8, 0.5, v4
	v_mul_f32_e32 v7, 0.5, v10
	;; [unrolled: 1-line block ×3, first 2 shown]
	s_waitcnt vmcnt(0)
	v_mul_f32_e32 v5, v3, v8
	v_fma_f32 v10, v7, v3, v4
	v_fma_f32 v11, v7, v3, -v4
	v_fma_f32 v3, 0.5, v9, v5
	v_fma_f32 v4, -v2, v8, v10
	v_fma_f32 v5, v9, 0.5, -v5
	v_fmac_f32_e32 v3, v2, v7
	v_fma_f32 v8, -v2, v8, v11
	v_fma_f32 v7, -v2, v7, v5
	ds_write_b64 v50, v[3:4] offset:4896
	ds_write_b64 v6, v[7:8] offset:5712
.LBB0_23:
	s_or_b64 exec, exec, s[4:5]
	s_waitcnt lgkmcnt(0)
	s_barrier
	s_and_saveexec_b64 s[4:5], s[0:1]
	s_cbranch_execz .LBB0_26
; %bb.24:
	ds_read2_b64 v[4:7], v50 offset1:102
	v_mov_b32_e32 v2, s3
	v_add_co_u32_e32 v3, vcc, s2, v46
	v_add_u32_e32 v8, 0x400, v50
	v_addc_co_u32_e32 v2, vcc, v2, v47, vcc
	ds_read2_b64 v[8:11], v8 offset0:76 offset1:178
	v_add_co_u32_e32 v0, vcc, v3, v0
	v_add_u32_e32 v12, 0x800, v50
	v_addc_co_u32_e32 v1, vcc, v2, v1, vcc
	ds_read2_b64 v[12:15], v12 offset0:152 offset1:254
	s_waitcnt lgkmcnt(2)
	global_store_dwordx2 v[0:1], v[4:5], off
	global_store_dwordx2 v[0:1], v[6:7], off offset:816
	s_waitcnt lgkmcnt(1)
	global_store_dwordx2 v[0:1], v[8:9], off offset:1632
	global_store_dwordx2 v[0:1], v[10:11], off offset:2448
	s_waitcnt lgkmcnt(0)
	global_store_dwordx2 v[0:1], v[12:13], off offset:3264
	global_store_dwordx2 v[0:1], v[14:15], off offset:4080
	v_add_u32_e32 v4, 0x1000, v50
	ds_read2_b64 v[4:7], v4 offset0:100 offset1:202
	v_add_u32_e32 v8, 0x1800, v50
	s_movk_i32 s0, 0x1000
	ds_read2_b64 v[8:11], v8 offset0:48 offset1:150
	v_add_co_u32_e32 v16, vcc, s0, v0
	v_add_u32_e32 v12, 0x1c00, v50
	v_addc_co_u32_e32 v17, vcc, 0, v1, vcc
	ds_read2_b64 v[12:15], v12 offset0:124 offset1:226
	s_waitcnt lgkmcnt(2)
	global_store_dwordx2 v[16:17], v[4:5], off offset:800
	global_store_dwordx2 v[16:17], v[6:7], off offset:1616
	s_waitcnt lgkmcnt(1)
	global_store_dwordx2 v[16:17], v[8:9], off offset:2432
	global_store_dwordx2 v[16:17], v[10:11], off offset:3248
	s_waitcnt lgkmcnt(0)
	global_store_dwordx2 v[16:17], v[12:13], off offset:4064
	ds_read_b64 v[4:5], v50 offset:9792
	v_add_co_u32_e32 v0, vcc, 0x2000, v0
	v_addc_co_u32_e32 v1, vcc, 0, v1, vcc
	s_movk_i32 s0, 0x65
	v_cmp_eq_u32_e32 vcc, s0, v44
	global_store_dwordx2 v[0:1], v[14:15], off offset:784
	s_waitcnt lgkmcnt(0)
	global_store_dwordx2 v[0:1], v[4:5], off offset:1600
	s_and_b64 exec, exec, vcc
	s_cbranch_execz .LBB0_26
; %bb.25:
	ds_read_b64 v[0:1], v50 offset:9800
	v_add_co_u32_e32 v3, vcc, 0x2000, v3
	v_addc_co_u32_e32 v4, vcc, 0, v2, vcc
	s_waitcnt lgkmcnt(0)
	global_store_dwordx2 v[3:4], v[0:1], off offset:2416
.LBB0_26:
	s_endpgm
	.section	.rodata,"a",@progbits
	.p2align	6, 0x0
	.amdhsa_kernel fft_rtc_fwd_len1326_factors_17_6_13_wgs_204_tpt_102_halfLds_sp_ip_CI_unitstride_sbrr_R2C_dirReg
		.amdhsa_group_segment_fixed_size 0
		.amdhsa_private_segment_fixed_size 0
		.amdhsa_kernarg_size 88
		.amdhsa_user_sgpr_count 6
		.amdhsa_user_sgpr_private_segment_buffer 1
		.amdhsa_user_sgpr_dispatch_ptr 0
		.amdhsa_user_sgpr_queue_ptr 0
		.amdhsa_user_sgpr_kernarg_segment_ptr 1
		.amdhsa_user_sgpr_dispatch_id 0
		.amdhsa_user_sgpr_flat_scratch_init 0
		.amdhsa_user_sgpr_private_segment_size 0
		.amdhsa_uses_dynamic_stack 0
		.amdhsa_system_sgpr_private_segment_wavefront_offset 0
		.amdhsa_system_sgpr_workgroup_id_x 1
		.amdhsa_system_sgpr_workgroup_id_y 0
		.amdhsa_system_sgpr_workgroup_id_z 0
		.amdhsa_system_sgpr_workgroup_info 0
		.amdhsa_system_vgpr_workitem_id 0
		.amdhsa_next_free_vgpr 256
		.amdhsa_next_free_sgpr 22
		.amdhsa_reserve_vcc 1
		.amdhsa_reserve_flat_scratch 0
		.amdhsa_float_round_mode_32 0
		.amdhsa_float_round_mode_16_64 0
		.amdhsa_float_denorm_mode_32 3
		.amdhsa_float_denorm_mode_16_64 3
		.amdhsa_dx10_clamp 1
		.amdhsa_ieee_mode 1
		.amdhsa_fp16_overflow 0
		.amdhsa_exception_fp_ieee_invalid_op 0
		.amdhsa_exception_fp_denorm_src 0
		.amdhsa_exception_fp_ieee_div_zero 0
		.amdhsa_exception_fp_ieee_overflow 0
		.amdhsa_exception_fp_ieee_underflow 0
		.amdhsa_exception_fp_ieee_inexact 0
		.amdhsa_exception_int_div_zero 0
	.end_amdhsa_kernel
	.text
.Lfunc_end0:
	.size	fft_rtc_fwd_len1326_factors_17_6_13_wgs_204_tpt_102_halfLds_sp_ip_CI_unitstride_sbrr_R2C_dirReg, .Lfunc_end0-fft_rtc_fwd_len1326_factors_17_6_13_wgs_204_tpt_102_halfLds_sp_ip_CI_unitstride_sbrr_R2C_dirReg
                                        ; -- End function
	.section	.AMDGPU.csdata,"",@progbits
; Kernel info:
; codeLenInByte = 13032
; NumSgprs: 26
; NumVgprs: 256
; ScratchSize: 0
; MemoryBound: 0
; FloatMode: 240
; IeeeMode: 1
; LDSByteSize: 0 bytes/workgroup (compile time only)
; SGPRBlocks: 3
; VGPRBlocks: 63
; NumSGPRsForWavesPerEU: 26
; NumVGPRsForWavesPerEU: 256
; Occupancy: 1
; WaveLimiterHint : 1
; COMPUTE_PGM_RSRC2:SCRATCH_EN: 0
; COMPUTE_PGM_RSRC2:USER_SGPR: 6
; COMPUTE_PGM_RSRC2:TRAP_HANDLER: 0
; COMPUTE_PGM_RSRC2:TGID_X_EN: 1
; COMPUTE_PGM_RSRC2:TGID_Y_EN: 0
; COMPUTE_PGM_RSRC2:TGID_Z_EN: 0
; COMPUTE_PGM_RSRC2:TIDIG_COMP_CNT: 0
	.type	__hip_cuid_954c357c28d4bf,@object ; @__hip_cuid_954c357c28d4bf
	.section	.bss,"aw",@nobits
	.globl	__hip_cuid_954c357c28d4bf
__hip_cuid_954c357c28d4bf:
	.byte	0                               ; 0x0
	.size	__hip_cuid_954c357c28d4bf, 1

	.ident	"AMD clang version 19.0.0git (https://github.com/RadeonOpenCompute/llvm-project roc-6.4.0 25133 c7fe45cf4b819c5991fe208aaa96edf142730f1d)"
	.section	".note.GNU-stack","",@progbits
	.addrsig
	.addrsig_sym __hip_cuid_954c357c28d4bf
	.amdgpu_metadata
---
amdhsa.kernels:
  - .args:
      - .actual_access:  read_only
        .address_space:  global
        .offset:         0
        .size:           8
        .value_kind:     global_buffer
      - .offset:         8
        .size:           8
        .value_kind:     by_value
      - .actual_access:  read_only
        .address_space:  global
        .offset:         16
        .size:           8
        .value_kind:     global_buffer
      - .actual_access:  read_only
        .address_space:  global
        .offset:         24
        .size:           8
        .value_kind:     global_buffer
      - .offset:         32
        .size:           8
        .value_kind:     by_value
      - .actual_access:  read_only
        .address_space:  global
        .offset:         40
        .size:           8
        .value_kind:     global_buffer
      - .actual_access:  read_only
        .address_space:  global
        .offset:         48
        .size:           8
        .value_kind:     global_buffer
      - .offset:         56
        .size:           4
        .value_kind:     by_value
      - .actual_access:  read_only
        .address_space:  global
        .offset:         64
        .size:           8
        .value_kind:     global_buffer
      - .actual_access:  read_only
        .address_space:  global
        .offset:         72
        .size:           8
        .value_kind:     global_buffer
      - .address_space:  global
        .offset:         80
        .size:           8
        .value_kind:     global_buffer
    .group_segment_fixed_size: 0
    .kernarg_segment_align: 8
    .kernarg_segment_size: 88
    .language:       OpenCL C
    .language_version:
      - 2
      - 0
    .max_flat_workgroup_size: 204
    .name:           fft_rtc_fwd_len1326_factors_17_6_13_wgs_204_tpt_102_halfLds_sp_ip_CI_unitstride_sbrr_R2C_dirReg
    .private_segment_fixed_size: 0
    .sgpr_count:     26
    .sgpr_spill_count: 0
    .symbol:         fft_rtc_fwd_len1326_factors_17_6_13_wgs_204_tpt_102_halfLds_sp_ip_CI_unitstride_sbrr_R2C_dirReg.kd
    .uniform_work_group_size: 1
    .uses_dynamic_stack: false
    .vgpr_count:     256
    .vgpr_spill_count: 0
    .wavefront_size: 64
amdhsa.target:   amdgcn-amd-amdhsa--gfx906
amdhsa.version:
  - 1
  - 2
...

	.end_amdgpu_metadata
